;; amdgpu-corpus repo=zjin-lcf/HeCBench kind=compiled arch=gfx906 opt=O3
	.amdgcn_target "amdgcn-amd-amdhsa--gfx906"
	.amdhsa_code_object_version 6
	.section	.text._Z32nll_loss_forward_reduce2d_kernelIffiLi64EEvPT_S1_PKS0_PKT1_S3_blll,"axG",@progbits,_Z32nll_loss_forward_reduce2d_kernelIffiLi64EEvPT_S1_PKS0_PKT1_S3_blll,comdat
	.protected	_Z32nll_loss_forward_reduce2d_kernelIffiLi64EEvPT_S1_PKS0_PKT1_S3_blll ; -- Begin function _Z32nll_loss_forward_reduce2d_kernelIffiLi64EEvPT_S1_PKS0_PKT1_S3_blll
	.globl	_Z32nll_loss_forward_reduce2d_kernelIffiLi64EEvPT_S1_PKS0_PKT1_S3_blll
	.p2align	8
	.type	_Z32nll_loss_forward_reduce2d_kernelIffiLi64EEvPT_S1_PKS0_PKT1_S3_blll,@function
_Z32nll_loss_forward_reduce2d_kernelIffiLi64EEvPT_S1_PKS0_PKT1_S3_blll: ; @_Z32nll_loss_forward_reduce2d_kernelIffiLi64EEvPT_S1_PKS0_PKT1_S3_blll
; %bb.0:
	s_load_dwordx4 s[12:15], s[4:5], 0x30
	s_load_dwordx4 s[8:11], s[4:5], 0x0
	v_mov_b32_e32 v1, 0
	v_lshlrev_b32_e32 v8, 2, v0
	ds_write2st64_b32 v8, v1, v1 offset1:1
	s_waitcnt lgkmcnt(0)
	v_cmp_gt_i64_e32 vcc, s[12:13], v[0:1]
	s_and_saveexec_b64 s[6:7], vcc
	s_cbranch_execz .LBB0_8
; %bb.1:
	v_mad_u64_u32 v[2:3], s[0:1], s14, v0, 0
	s_load_dwordx4 s[0:3], s[4:5], 0x10
	s_load_dwordx2 s[16:17], s[4:5], 0x20
	s_load_dwordx2 s[18:19], s[4:5], 0x40
	v_add_u32_e32 v9, 0x100, v8
	v_mad_u64_u32 v[3:4], s[20:21], s15, v0, v[3:4]
	s_waitcnt lgkmcnt(0)
	s_cmp_lg_u64 s[16:17], 0
	s_cselect_b64 s[22:23], -1, 0
	v_lshlrev_b64 v[2:3], 2, v[2:3]
	v_mov_b32_e32 v4, s1
	v_add_co_u32_e32 v10, vcc, s0, v2
	v_addc_co_u32_e32 v11, vcc, v4, v3, vcc
	v_lshlrev_b32_e32 v2, 2, v0
	v_cndmask_b32_e64 v4, 0, 1, s[22:23]
	v_mov_b32_e32 v3, s3
	v_add_co_u32_e32 v2, vcc, s2, v2
	v_cmp_ne_u32_e64 s[0:1], 1, v4
	v_mov_b32_e32 v5, v1
	s_mov_b64 s[20:21], 0
	s_lshl_b64 s[14:15], s[14:15], 8
	v_addc_co_u32_e32 v3, vcc, 0, v3, vcc
	v_mov_b32_e32 v12, v1
	v_mov_b32_e32 v4, v0
	s_branch .LBB0_5
.LBB0_2:                                ;   in Loop: Header=BB0_5 Depth=1
	v_mov_b32_e32 v14, s17
	v_add_co_u32_e32 v13, vcc, s16, v6
	v_addc_co_u32_e32 v14, vcc, v14, v7, vcc
	global_load_dword v13, v[13:14], off
.LBB0_3:                                ;   in Loop: Header=BB0_5 Depth=1
	v_add_co_u32_e32 v6, vcc, v10, v6
	v_addc_co_u32_e32 v7, vcc, v11, v7, vcc
	global_load_dword v6, v[6:7], off
	s_waitcnt vmcnt(1)
	v_add_f32_e32 v1, v13, v1
	s_waitcnt vmcnt(0)
	v_fma_f32 v12, -v13, v6, v12
	ds_write_b32 v9, v12
	ds_write_b32 v8, v1
.LBB0_4:                                ;   in Loop: Header=BB0_5 Depth=1
	s_or_b64 exec, exec, s[2:3]
	v_add_co_u32_e32 v4, vcc, 64, v4
	v_addc_co_u32_e32 v5, vcc, 0, v5, vcc
	v_mov_b32_e32 v6, s15
	v_add_co_u32_e32 v10, vcc, s14, v10
	v_addc_co_u32_e32 v11, vcc, v11, v6, vcc
	v_cmp_le_i64_e64 s[2:3], s[12:13], v[4:5]
	v_add_co_u32_e32 v2, vcc, 0x100, v2
	s_or_b64 s[20:21], s[2:3], s[20:21]
	v_addc_co_u32_e32 v3, vcc, 0, v3, vcc
	s_andn2_b64 exec, exec, s[20:21]
	s_cbranch_execz .LBB0_8
.LBB0_5:                                ; =>This Inner Loop Header: Depth=1
	global_load_dword v6, v[2:3], off
	s_waitcnt vmcnt(0)
	v_ashrrev_i32_e32 v7, 31, v6
	v_cmp_ne_u64_e32 vcc, s[18:19], v[6:7]
	s_and_saveexec_b64 s[2:3], vcc
	s_cbranch_execz .LBB0_4
; %bb.6:                                ;   in Loop: Header=BB0_5 Depth=1
	v_lshlrev_b64 v[6:7], 2, v[6:7]
	s_and_b64 vcc, exec, s[0:1]
	s_cbranch_vccz .LBB0_2
; %bb.7:                                ;   in Loop: Header=BB0_5 Depth=1
	v_mov_b32_e32 v13, 1.0
	s_branch .LBB0_3
.LBB0_8:
	s_or_b64 exec, exec, s[6:7]
; %bb.9:
	v_cmp_eq_u32_e32 vcc, 0, v0
	s_waitcnt lgkmcnt(0)
	s_barrier
	s_and_saveexec_b64 s[0:1], vcc
	s_cbranch_execz .LBB0_11
; %bb.10:
	v_mov_b32_e32 v0, 0
	ds_read_b128 v[1:4], v0 offset:256
	ds_read_b128 v[5:8], v0
	ds_read_b128 v[9:12], v0 offset:16
	ds_read_b128 v[13:16], v0 offset:272
	s_waitcnt lgkmcnt(3)
	v_add_f32_e32 v1, 0, v1
	v_add_f32_e32 v1, v1, v2
	;; [unrolled: 1-line block ×4, first 2 shown]
	s_waitcnt lgkmcnt(2)
	v_add_f32_e32 v5, 0, v5
	s_waitcnt lgkmcnt(0)
	v_add_f32_e32 v13, v17, v13
	v_add_f32_e32 v2, v5, v6
	;; [unrolled: 1-line block ×6, first 2 shown]
	ds_read_b128 v[1:4], v0 offset:32
	ds_read_b128 v[5:8], v0 offset:48
	v_add_f32_e32 v17, v13, v16
	ds_read_b128 v[13:16], v0 offset:288
	v_add_f32_e32 v9, v18, v9
	v_add_f32_e32 v9, v9, v10
	;; [unrolled: 1-line block ×4, first 2 shown]
	ds_read_b128 v[9:12], v0 offset:304
	s_waitcnt lgkmcnt(1)
	v_add_f32_e32 v13, v17, v13
	v_add_f32_e32 v1, v18, v1
	;; [unrolled: 1-line block ×8, first 2 shown]
	s_waitcnt lgkmcnt(0)
	v_add_f32_e32 v2, v2, v9
	v_add_f32_e32 v1, v1, v5
	;; [unrolled: 1-line block ×6, first 2 shown]
	ds_read_b128 v[1:4], v0 offset:320
	v_add_f32_e32 v13, v5, v12
	ds_read_b128 v[9:12], v0 offset:64
	v_add_f32_e32 v17, v6, v8
	ds_read_b128 v[5:8], v0 offset:336
	s_waitcnt lgkmcnt(2)
	v_add_f32_e32 v1, v13, v1
	ds_read_b128 v[13:16], v0 offset:80
	s_waitcnt lgkmcnt(2)
	v_add_f32_e32 v9, v17, v9
	v_add_f32_e32 v1, v1, v2
	v_add_f32_e32 v2, v9, v10
	v_add_f32_e32 v1, v1, v3
	v_add_f32_e32 v2, v2, v11
	v_add_f32_e32 v1, v1, v4
	v_add_f32_e32 v2, v2, v12
	s_waitcnt lgkmcnt(1)
	v_add_f32_e32 v1, v1, v5
	s_waitcnt lgkmcnt(0)
	v_add_f32_e32 v2, v2, v13
	v_add_f32_e32 v1, v1, v6
	v_add_f32_e32 v2, v2, v14
	v_add_f32_e32 v5, v1, v7
	v_add_f32_e32 v9, v2, v15
	ds_read_b128 v[1:4], v0 offset:352
	v_add_f32_e32 v13, v5, v8
	ds_read_b128 v[5:8], v0 offset:96
	v_add_f32_e32 v17, v9, v16
	ds_read_b128 v[9:12], v0 offset:368
	s_waitcnt lgkmcnt(2)
	v_add_f32_e32 v1, v13, v1
	ds_read_b128 v[13:16], v0 offset:112
	s_waitcnt lgkmcnt(2)
	v_add_f32_e32 v5, v17, v5
	v_add_f32_e32 v1, v1, v2
	v_add_f32_e32 v2, v5, v6
	v_add_f32_e32 v1, v1, v3
	v_add_f32_e32 v2, v2, v7
	v_add_f32_e32 v1, v1, v4
	v_add_f32_e32 v2, v2, v8
	s_waitcnt lgkmcnt(1)
	v_add_f32_e32 v1, v1, v9
	s_waitcnt lgkmcnt(0)
	v_add_f32_e32 v2, v2, v13
	v_add_f32_e32 v1, v1, v10
	v_add_f32_e32 v2, v2, v14
	v_add_f32_e32 v5, v1, v11
	v_add_f32_e32 v9, v2, v15
	;; [unrolled: 24-line block ×6, first 2 shown]
	v_add_f32_e32 v1, v1, v12
	v_add_f32_e32 v2, v2, v16
	v_div_scale_f32 v3, s[0:1], v2, v2, v1
	v_div_scale_f32 v4, vcc, v1, v2, v1
	s_load_dword s0, s[4:5], 0x28
	global_store_dword v0, v2, s[10:11]
	s_waitcnt lgkmcnt(0)
	s_bitcmp1_b32 s0, 0
	v_rcp_f32_e32 v5, v3
	v_fma_f32 v6, -v3, v5, 1.0
	v_fmac_f32_e32 v5, v6, v5
	v_mul_f32_e32 v6, v4, v5
	v_fma_f32 v7, -v3, v6, v4
	v_fmac_f32_e32 v6, v7, v5
	v_fma_f32 v3, -v3, v6, v4
	v_div_fmas_f32 v3, v3, v5, v6
	s_cselect_b64 vcc, -1, 0
	v_div_fixup_f32 v2, v3, v2, v1
	v_cndmask_b32_e32 v1, v1, v2, vcc
	global_store_dword v0, v1, s[8:9]
.LBB0_11:
	s_endpgm
	.section	.rodata,"a",@progbits
	.p2align	6, 0x0
	.amdhsa_kernel _Z32nll_loss_forward_reduce2d_kernelIffiLi64EEvPT_S1_PKS0_PKT1_S3_blll
		.amdhsa_group_segment_fixed_size 512
		.amdhsa_private_segment_fixed_size 0
		.amdhsa_kernarg_size 72
		.amdhsa_user_sgpr_count 6
		.amdhsa_user_sgpr_private_segment_buffer 1
		.amdhsa_user_sgpr_dispatch_ptr 0
		.amdhsa_user_sgpr_queue_ptr 0
		.amdhsa_user_sgpr_kernarg_segment_ptr 1
		.amdhsa_user_sgpr_dispatch_id 0
		.amdhsa_user_sgpr_flat_scratch_init 0
		.amdhsa_user_sgpr_private_segment_size 0
		.amdhsa_uses_dynamic_stack 0
		.amdhsa_system_sgpr_private_segment_wavefront_offset 0
		.amdhsa_system_sgpr_workgroup_id_x 1
		.amdhsa_system_sgpr_workgroup_id_y 0
		.amdhsa_system_sgpr_workgroup_id_z 0
		.amdhsa_system_sgpr_workgroup_info 0
		.amdhsa_system_vgpr_workitem_id 0
		.amdhsa_next_free_vgpr 19
		.amdhsa_next_free_sgpr 24
		.amdhsa_reserve_vcc 1
		.amdhsa_reserve_flat_scratch 0
		.amdhsa_float_round_mode_32 0
		.amdhsa_float_round_mode_16_64 0
		.amdhsa_float_denorm_mode_32 3
		.amdhsa_float_denorm_mode_16_64 3
		.amdhsa_dx10_clamp 1
		.amdhsa_ieee_mode 1
		.amdhsa_fp16_overflow 0
		.amdhsa_exception_fp_ieee_invalid_op 0
		.amdhsa_exception_fp_denorm_src 0
		.amdhsa_exception_fp_ieee_div_zero 0
		.amdhsa_exception_fp_ieee_overflow 0
		.amdhsa_exception_fp_ieee_underflow 0
		.amdhsa_exception_fp_ieee_inexact 0
		.amdhsa_exception_int_div_zero 0
	.end_amdhsa_kernel
	.section	.text._Z32nll_loss_forward_reduce2d_kernelIffiLi64EEvPT_S1_PKS0_PKT1_S3_blll,"axG",@progbits,_Z32nll_loss_forward_reduce2d_kernelIffiLi64EEvPT_S1_PKS0_PKT1_S3_blll,comdat
.Lfunc_end0:
	.size	_Z32nll_loss_forward_reduce2d_kernelIffiLi64EEvPT_S1_PKS0_PKT1_S3_blll, .Lfunc_end0-_Z32nll_loss_forward_reduce2d_kernelIffiLi64EEvPT_S1_PKS0_PKT1_S3_blll
                                        ; -- End function
	.set _Z32nll_loss_forward_reduce2d_kernelIffiLi64EEvPT_S1_PKS0_PKT1_S3_blll.num_vgpr, 19
	.set _Z32nll_loss_forward_reduce2d_kernelIffiLi64EEvPT_S1_PKS0_PKT1_S3_blll.num_agpr, 0
	.set _Z32nll_loss_forward_reduce2d_kernelIffiLi64EEvPT_S1_PKS0_PKT1_S3_blll.numbered_sgpr, 24
	.set _Z32nll_loss_forward_reduce2d_kernelIffiLi64EEvPT_S1_PKS0_PKT1_S3_blll.num_named_barrier, 0
	.set _Z32nll_loss_forward_reduce2d_kernelIffiLi64EEvPT_S1_PKS0_PKT1_S3_blll.private_seg_size, 0
	.set _Z32nll_loss_forward_reduce2d_kernelIffiLi64EEvPT_S1_PKS0_PKT1_S3_blll.uses_vcc, 1
	.set _Z32nll_loss_forward_reduce2d_kernelIffiLi64EEvPT_S1_PKS0_PKT1_S3_blll.uses_flat_scratch, 0
	.set _Z32nll_loss_forward_reduce2d_kernelIffiLi64EEvPT_S1_PKS0_PKT1_S3_blll.has_dyn_sized_stack, 0
	.set _Z32nll_loss_forward_reduce2d_kernelIffiLi64EEvPT_S1_PKS0_PKT1_S3_blll.has_recursion, 0
	.set _Z32nll_loss_forward_reduce2d_kernelIffiLi64EEvPT_S1_PKS0_PKT1_S3_blll.has_indirect_call, 0
	.section	.AMDGPU.csdata,"",@progbits
; Kernel info:
; codeLenInByte = 1392
; TotalNumSgprs: 28
; NumVgprs: 19
; ScratchSize: 0
; MemoryBound: 0
; FloatMode: 240
; IeeeMode: 1
; LDSByteSize: 512 bytes/workgroup (compile time only)
; SGPRBlocks: 3
; VGPRBlocks: 4
; NumSGPRsForWavesPerEU: 28
; NumVGPRsForWavesPerEU: 19
; Occupancy: 10
; WaveLimiterHint : 1
; COMPUTE_PGM_RSRC2:SCRATCH_EN: 0
; COMPUTE_PGM_RSRC2:USER_SGPR: 6
; COMPUTE_PGM_RSRC2:TRAP_HANDLER: 0
; COMPUTE_PGM_RSRC2:TGID_X_EN: 1
; COMPUTE_PGM_RSRC2:TGID_Y_EN: 0
; COMPUTE_PGM_RSRC2:TGID_Z_EN: 0
; COMPUTE_PGM_RSRC2:TIDIG_COMP_CNT: 0
	.section	.text._Z32nll_loss_forward_reduce2d_kernelIffiLi128EEvPT_S1_PKS0_PKT1_S3_blll,"axG",@progbits,_Z32nll_loss_forward_reduce2d_kernelIffiLi128EEvPT_S1_PKS0_PKT1_S3_blll,comdat
	.protected	_Z32nll_loss_forward_reduce2d_kernelIffiLi128EEvPT_S1_PKS0_PKT1_S3_blll ; -- Begin function _Z32nll_loss_forward_reduce2d_kernelIffiLi128EEvPT_S1_PKS0_PKT1_S3_blll
	.globl	_Z32nll_loss_forward_reduce2d_kernelIffiLi128EEvPT_S1_PKS0_PKT1_S3_blll
	.p2align	8
	.type	_Z32nll_loss_forward_reduce2d_kernelIffiLi128EEvPT_S1_PKS0_PKT1_S3_blll,@function
_Z32nll_loss_forward_reduce2d_kernelIffiLi128EEvPT_S1_PKS0_PKT1_S3_blll: ; @_Z32nll_loss_forward_reduce2d_kernelIffiLi128EEvPT_S1_PKS0_PKT1_S3_blll
; %bb.0:
	s_load_dwordx4 s[12:15], s[4:5], 0x30
	s_load_dwordx4 s[8:11], s[4:5], 0x0
	v_mov_b32_e32 v1, 0
	v_lshlrev_b32_e32 v8, 2, v0
	ds_write2st64_b32 v8, v1, v1 offset1:2
	s_waitcnt lgkmcnt(0)
	v_cmp_gt_i64_e32 vcc, s[12:13], v[0:1]
	s_and_saveexec_b64 s[6:7], vcc
	s_cbranch_execz .LBB1_8
; %bb.1:
	v_mad_u64_u32 v[2:3], s[0:1], s14, v0, 0
	s_load_dwordx4 s[0:3], s[4:5], 0x10
	s_load_dwordx2 s[16:17], s[4:5], 0x20
	s_load_dwordx2 s[18:19], s[4:5], 0x40
	v_add_u32_e32 v9, 0x200, v8
	v_mad_u64_u32 v[3:4], s[20:21], s15, v0, v[3:4]
	s_waitcnt lgkmcnt(0)
	s_cmp_lg_u64 s[16:17], 0
	s_cselect_b64 s[22:23], -1, 0
	v_lshlrev_b64 v[2:3], 2, v[2:3]
	v_mov_b32_e32 v4, s1
	v_add_co_u32_e32 v10, vcc, s0, v2
	v_addc_co_u32_e32 v11, vcc, v4, v3, vcc
	v_lshlrev_b32_e32 v2, 2, v0
	v_cndmask_b32_e64 v4, 0, 1, s[22:23]
	v_mov_b32_e32 v3, s3
	v_add_co_u32_e32 v2, vcc, s2, v2
	v_cmp_ne_u32_e64 s[0:1], 1, v4
	v_mov_b32_e32 v5, v1
	s_mov_b64 s[20:21], 0
	s_lshl_b64 s[14:15], s[14:15], 9
	v_addc_co_u32_e32 v3, vcc, 0, v3, vcc
	v_mov_b32_e32 v12, v1
	v_mov_b32_e32 v4, v0
	s_branch .LBB1_5
.LBB1_2:                                ;   in Loop: Header=BB1_5 Depth=1
	v_mov_b32_e32 v14, s17
	v_add_co_u32_e32 v13, vcc, s16, v6
	v_addc_co_u32_e32 v14, vcc, v14, v7, vcc
	global_load_dword v13, v[13:14], off
.LBB1_3:                                ;   in Loop: Header=BB1_5 Depth=1
	v_add_co_u32_e32 v6, vcc, v10, v6
	v_addc_co_u32_e32 v7, vcc, v11, v7, vcc
	global_load_dword v6, v[6:7], off
	s_waitcnt vmcnt(1)
	v_add_f32_e32 v1, v13, v1
	s_waitcnt vmcnt(0)
	v_fma_f32 v12, -v13, v6, v12
	ds_write_b32 v9, v12
	ds_write_b32 v8, v1
.LBB1_4:                                ;   in Loop: Header=BB1_5 Depth=1
	s_or_b64 exec, exec, s[2:3]
	v_add_co_u32_e32 v4, vcc, 0x80, v4
	v_addc_co_u32_e32 v5, vcc, 0, v5, vcc
	v_mov_b32_e32 v6, s15
	v_add_co_u32_e32 v10, vcc, s14, v10
	v_addc_co_u32_e32 v11, vcc, v11, v6, vcc
	v_cmp_le_i64_e64 s[2:3], s[12:13], v[4:5]
	v_add_co_u32_e32 v2, vcc, 0x200, v2
	s_or_b64 s[20:21], s[2:3], s[20:21]
	v_addc_co_u32_e32 v3, vcc, 0, v3, vcc
	s_andn2_b64 exec, exec, s[20:21]
	s_cbranch_execz .LBB1_8
.LBB1_5:                                ; =>This Inner Loop Header: Depth=1
	global_load_dword v6, v[2:3], off
	s_waitcnt vmcnt(0)
	v_ashrrev_i32_e32 v7, 31, v6
	v_cmp_ne_u64_e32 vcc, s[18:19], v[6:7]
	s_and_saveexec_b64 s[2:3], vcc
	s_cbranch_execz .LBB1_4
; %bb.6:                                ;   in Loop: Header=BB1_5 Depth=1
	v_lshlrev_b64 v[6:7], 2, v[6:7]
	s_and_b64 vcc, exec, s[0:1]
	s_cbranch_vccz .LBB1_2
; %bb.7:                                ;   in Loop: Header=BB1_5 Depth=1
	v_mov_b32_e32 v13, 1.0
	s_branch .LBB1_3
.LBB1_8:
	s_or_b64 exec, exec, s[6:7]
; %bb.9:
	s_mov_b32 s0, 0
	v_cmp_eq_u32_e32 vcc, 0, v0
	s_waitcnt lgkmcnt(0)
	s_barrier
	s_and_saveexec_b64 s[2:3], vcc
	s_cbranch_execz .LBB1_13
; %bb.10:
	v_mov_b32_e32 v0, 0
	v_mov_b32_e32 v1, 0
.LBB1_11:                               ; =>This Inner Loop Header: Depth=1
	v_mov_b32_e32 v18, s0
	ds_read_b128 v[2:5], v18 offset:512
	ds_read_b128 v[6:9], v18
	ds_read_b128 v[10:13], v18 offset:16
	ds_read_b128 v[14:17], v18 offset:528
	s_add_i32 s0, s0, 64
	s_waitcnt lgkmcnt(3)
	v_add_f32_e32 v1, v1, v2
	v_add_f32_e32 v1, v1, v3
	s_waitcnt lgkmcnt(2)
	v_add_f32_e32 v0, v0, v6
	v_add_f32_e32 v1, v1, v4
	;; [unrolled: 1-line block ×6, first 2 shown]
	s_waitcnt lgkmcnt(0)
	v_add_f32_e32 v9, v19, v14
	v_add_f32_e32 v9, v9, v15
	;; [unrolled: 1-line block ×3, first 2 shown]
	ds_read_b128 v[1:4], v18 offset:32
	ds_read_b128 v[5:8], v18 offset:48
	v_add_f32_e32 v19, v9, v17
	ds_read_b128 v[14:17], v18 offset:544
	v_add_f32_e32 v0, v0, v10
	v_add_f32_e32 v0, v0, v11
	v_add_f32_e32 v0, v0, v12
	v_add_f32_e32 v0, v0, v13
	ds_read_b128 v[9:12], v18 offset:560
	s_waitcnt lgkmcnt(1)
	v_add_f32_e32 v13, v19, v14
	v_add_f32_e32 v0, v0, v1
	;; [unrolled: 1-line block ×8, first 2 shown]
	s_waitcnt lgkmcnt(0)
	v_add_f32_e32 v1, v1, v9
	v_add_f32_e32 v0, v0, v5
	;; [unrolled: 1-line block ×6, first 2 shown]
	s_cmpk_eq_i32 s0, 0x200
	v_add_f32_e32 v1, v1, v12
	v_add_f32_e32 v0, v0, v8
	s_cbranch_scc0 .LBB1_11
; %bb.12:
	v_div_scale_f32 v2, s[0:1], v0, v0, v1
	v_div_scale_f32 v3, vcc, v1, v0, v1
	s_load_dword s0, s[4:5], 0x28
	s_waitcnt lgkmcnt(0)
	s_bitcmp1_b32 s0, 0
	v_rcp_f32_e32 v4, v2
	v_fma_f32 v5, -v2, v4, 1.0
	v_fmac_f32_e32 v4, v5, v4
	v_mul_f32_e32 v5, v3, v4
	v_fma_f32 v6, -v2, v5, v3
	v_fmac_f32_e32 v5, v6, v4
	v_fma_f32 v2, -v2, v5, v3
	v_div_fmas_f32 v2, v2, v4, v5
	v_mov_b32_e32 v3, 0
	global_store_dword v3, v0, s[10:11]
	s_cselect_b64 vcc, -1, 0
	v_div_fixup_f32 v0, v2, v0, v1
	v_cndmask_b32_e32 v0, v1, v0, vcc
	global_store_dword v3, v0, s[8:9]
.LBB1_13:
	s_endpgm
	.section	.rodata,"a",@progbits
	.p2align	6, 0x0
	.amdhsa_kernel _Z32nll_loss_forward_reduce2d_kernelIffiLi128EEvPT_S1_PKS0_PKT1_S3_blll
		.amdhsa_group_segment_fixed_size 1024
		.amdhsa_private_segment_fixed_size 0
		.amdhsa_kernarg_size 72
		.amdhsa_user_sgpr_count 6
		.amdhsa_user_sgpr_private_segment_buffer 1
		.amdhsa_user_sgpr_dispatch_ptr 0
		.amdhsa_user_sgpr_queue_ptr 0
		.amdhsa_user_sgpr_kernarg_segment_ptr 1
		.amdhsa_user_sgpr_dispatch_id 0
		.amdhsa_user_sgpr_flat_scratch_init 0
		.amdhsa_user_sgpr_private_segment_size 0
		.amdhsa_uses_dynamic_stack 0
		.amdhsa_system_sgpr_private_segment_wavefront_offset 0
		.amdhsa_system_sgpr_workgroup_id_x 1
		.amdhsa_system_sgpr_workgroup_id_y 0
		.amdhsa_system_sgpr_workgroup_id_z 0
		.amdhsa_system_sgpr_workgroup_info 0
		.amdhsa_system_vgpr_workitem_id 0
		.amdhsa_next_free_vgpr 20
		.amdhsa_next_free_sgpr 24
		.amdhsa_reserve_vcc 1
		.amdhsa_reserve_flat_scratch 0
		.amdhsa_float_round_mode_32 0
		.amdhsa_float_round_mode_16_64 0
		.amdhsa_float_denorm_mode_32 3
		.amdhsa_float_denorm_mode_16_64 3
		.amdhsa_dx10_clamp 1
		.amdhsa_ieee_mode 1
		.amdhsa_fp16_overflow 0
		.amdhsa_exception_fp_ieee_invalid_op 0
		.amdhsa_exception_fp_denorm_src 0
		.amdhsa_exception_fp_ieee_div_zero 0
		.amdhsa_exception_fp_ieee_overflow 0
		.amdhsa_exception_fp_ieee_underflow 0
		.amdhsa_exception_fp_ieee_inexact 0
		.amdhsa_exception_int_div_zero 0
	.end_amdhsa_kernel
	.section	.text._Z32nll_loss_forward_reduce2d_kernelIffiLi128EEvPT_S1_PKS0_PKT1_S3_blll,"axG",@progbits,_Z32nll_loss_forward_reduce2d_kernelIffiLi128EEvPT_S1_PKS0_PKT1_S3_blll,comdat
.Lfunc_end1:
	.size	_Z32nll_loss_forward_reduce2d_kernelIffiLi128EEvPT_S1_PKS0_PKT1_S3_blll, .Lfunc_end1-_Z32nll_loss_forward_reduce2d_kernelIffiLi128EEvPT_S1_PKS0_PKT1_S3_blll
                                        ; -- End function
	.set _Z32nll_loss_forward_reduce2d_kernelIffiLi128EEvPT_S1_PKS0_PKT1_S3_blll.num_vgpr, 20
	.set _Z32nll_loss_forward_reduce2d_kernelIffiLi128EEvPT_S1_PKS0_PKT1_S3_blll.num_agpr, 0
	.set _Z32nll_loss_forward_reduce2d_kernelIffiLi128EEvPT_S1_PKS0_PKT1_S3_blll.numbered_sgpr, 24
	.set _Z32nll_loss_forward_reduce2d_kernelIffiLi128EEvPT_S1_PKS0_PKT1_S3_blll.num_named_barrier, 0
	.set _Z32nll_loss_forward_reduce2d_kernelIffiLi128EEvPT_S1_PKS0_PKT1_S3_blll.private_seg_size, 0
	.set _Z32nll_loss_forward_reduce2d_kernelIffiLi128EEvPT_S1_PKS0_PKT1_S3_blll.uses_vcc, 1
	.set _Z32nll_loss_forward_reduce2d_kernelIffiLi128EEvPT_S1_PKS0_PKT1_S3_blll.uses_flat_scratch, 0
	.set _Z32nll_loss_forward_reduce2d_kernelIffiLi128EEvPT_S1_PKS0_PKT1_S3_blll.has_dyn_sized_stack, 0
	.set _Z32nll_loss_forward_reduce2d_kernelIffiLi128EEvPT_S1_PKS0_PKT1_S3_blll.has_recursion, 0
	.set _Z32nll_loss_forward_reduce2d_kernelIffiLi128EEvPT_S1_PKS0_PKT1_S3_blll.has_indirect_call, 0
	.section	.AMDGPU.csdata,"",@progbits
; Kernel info:
; codeLenInByte = 752
; TotalNumSgprs: 28
; NumVgprs: 20
; ScratchSize: 0
; MemoryBound: 0
; FloatMode: 240
; IeeeMode: 1
; LDSByteSize: 1024 bytes/workgroup (compile time only)
; SGPRBlocks: 3
; VGPRBlocks: 4
; NumSGPRsForWavesPerEU: 28
; NumVGPRsForWavesPerEU: 20
; Occupancy: 10
; WaveLimiterHint : 1
; COMPUTE_PGM_RSRC2:SCRATCH_EN: 0
; COMPUTE_PGM_RSRC2:USER_SGPR: 6
; COMPUTE_PGM_RSRC2:TRAP_HANDLER: 0
; COMPUTE_PGM_RSRC2:TGID_X_EN: 1
; COMPUTE_PGM_RSRC2:TGID_Y_EN: 0
; COMPUTE_PGM_RSRC2:TGID_Z_EN: 0
; COMPUTE_PGM_RSRC2:TIDIG_COMP_CNT: 0
	.section	.text._Z32nll_loss_forward_reduce2d_kernelIffiLi256EEvPT_S1_PKS0_PKT1_S3_blll,"axG",@progbits,_Z32nll_loss_forward_reduce2d_kernelIffiLi256EEvPT_S1_PKS0_PKT1_S3_blll,comdat
	.protected	_Z32nll_loss_forward_reduce2d_kernelIffiLi256EEvPT_S1_PKS0_PKT1_S3_blll ; -- Begin function _Z32nll_loss_forward_reduce2d_kernelIffiLi256EEvPT_S1_PKS0_PKT1_S3_blll
	.globl	_Z32nll_loss_forward_reduce2d_kernelIffiLi256EEvPT_S1_PKS0_PKT1_S3_blll
	.p2align	8
	.type	_Z32nll_loss_forward_reduce2d_kernelIffiLi256EEvPT_S1_PKS0_PKT1_S3_blll,@function
_Z32nll_loss_forward_reduce2d_kernelIffiLi256EEvPT_S1_PKS0_PKT1_S3_blll: ; @_Z32nll_loss_forward_reduce2d_kernelIffiLi256EEvPT_S1_PKS0_PKT1_S3_blll
; %bb.0:
	s_load_dwordx4 s[12:15], s[4:5], 0x30
	s_load_dwordx4 s[8:11], s[4:5], 0x0
	v_mov_b32_e32 v1, 0
	v_lshlrev_b32_e32 v8, 2, v0
	ds_write2st64_b32 v8, v1, v1 offset1:4
	s_waitcnt lgkmcnt(0)
	v_cmp_gt_i64_e32 vcc, s[12:13], v[0:1]
	s_and_saveexec_b64 s[2:3], vcc
	s_cbranch_execz .LBB2_8
; %bb.1:
	v_mad_u64_u32 v[2:3], s[0:1], s14, v0, 0
	s_load_dwordx4 s[24:27], s[4:5], 0x10
	s_load_dwordx2 s[6:7], s[4:5], 0x20
	s_load_dwordx2 s[16:17], s[4:5], 0x40
	v_add_u32_e32 v9, 0x400, v8
	v_mad_u64_u32 v[3:4], s[0:1], s15, v0, v[3:4]
	s_waitcnt lgkmcnt(0)
	v_mov_b32_e32 v4, s25
	s_cmp_lg_u64 s[6:7], 0
	v_lshlrev_b64 v[2:3], 2, v[2:3]
	s_mov_b64 s[18:19], 0
	v_add_co_u32_e32 v10, vcc, s24, v2
	v_addc_co_u32_e32 v11, vcc, v4, v3, vcc
	v_lshlrev_b32_e32 v2, 2, v0
	v_mov_b32_e32 v3, s27
	v_add_co_u32_e32 v2, vcc, s26, v2
	v_mov_b32_e32 v5, v1
	s_cselect_b64 s[20:21], -1, 0
	s_lshl_b64 s[14:15], s[14:15], 10
	v_addc_co_u32_e32 v3, vcc, 0, v3, vcc
	v_mov_b32_e32 v12, v1
	v_mov_b32_e32 v4, v0
	s_branch .LBB2_5
.LBB2_2:                                ;   in Loop: Header=BB2_5 Depth=1
	v_mov_b32_e32 v14, s7
	v_add_co_u32_e32 v13, vcc, s6, v6
	v_addc_co_u32_e32 v14, vcc, v14, v7, vcc
	global_load_dword v13, v[13:14], off
.LBB2_3:                                ;   in Loop: Header=BB2_5 Depth=1
	v_add_co_u32_e32 v6, vcc, v10, v6
	v_addc_co_u32_e32 v7, vcc, v11, v7, vcc
	global_load_dword v6, v[6:7], off
	s_waitcnt vmcnt(1)
	v_add_f32_e32 v1, v13, v1
	s_waitcnt vmcnt(0)
	v_fma_f32 v12, -v13, v6, v12
	ds_write_b32 v9, v12
	ds_write_b32 v8, v1
.LBB2_4:                                ;   in Loop: Header=BB2_5 Depth=1
	s_or_b64 exec, exec, s[0:1]
	v_add_co_u32_e32 v4, vcc, 0x100, v4
	v_addc_co_u32_e32 v5, vcc, 0, v5, vcc
	v_mov_b32_e32 v6, s15
	v_add_co_u32_e32 v10, vcc, s14, v10
	v_addc_co_u32_e32 v11, vcc, v11, v6, vcc
	v_cmp_le_i64_e64 s[0:1], s[12:13], v[4:5]
	v_add_co_u32_e32 v2, vcc, 0x400, v2
	s_or_b64 s[18:19], s[0:1], s[18:19]
	v_addc_co_u32_e32 v3, vcc, 0, v3, vcc
	s_andn2_b64 exec, exec, s[18:19]
	s_cbranch_execz .LBB2_8
.LBB2_5:                                ; =>This Inner Loop Header: Depth=1
	global_load_dword v6, v[2:3], off
	s_waitcnt vmcnt(0)
	v_ashrrev_i32_e32 v7, 31, v6
	v_cmp_ne_u64_e32 vcc, s[16:17], v[6:7]
	s_and_saveexec_b64 s[0:1], vcc
	s_cbranch_execz .LBB2_4
; %bb.6:                                ;   in Loop: Header=BB2_5 Depth=1
	v_lshlrev_b64 v[6:7], 2, v[6:7]
	s_andn2_b64 vcc, exec, s[20:21]
	s_cbranch_vccz .LBB2_2
; %bb.7:                                ;   in Loop: Header=BB2_5 Depth=1
	v_mov_b32_e32 v13, 1.0
	s_branch .LBB2_3
.LBB2_8:
	s_or_b64 exec, exec, s[2:3]
; %bb.9:
	s_mov_b32 s0, 0
	v_cmp_eq_u32_e32 vcc, 0, v0
	s_waitcnt lgkmcnt(0)
	s_barrier
	s_and_saveexec_b64 s[2:3], vcc
	s_cbranch_execz .LBB2_13
; %bb.10:
	v_mov_b32_e32 v0, 0
	v_mov_b32_e32 v1, 0
.LBB2_11:                               ; =>This Inner Loop Header: Depth=1
	v_mov_b32_e32 v26, s0
	ds_read_b128 v[2:5], v26 offset:1024
	ds_read_b128 v[6:9], v26
	ds_read_b128 v[10:13], v26 offset:16
	ds_read_b128 v[14:17], v26 offset:32
	;; [unrolled: 1-line block ×4, first 2 shown]
	s_waitcnt lgkmcnt(5)
	v_add_f32_e32 v1, v1, v2
	s_waitcnt lgkmcnt(4)
	v_add_f32_e32 v0, v0, v6
	v_add_f32_e32 v1, v1, v3
	;; [unrolled: 1-line block ×6, first 2 shown]
	ds_read_b128 v[1:4], v26 offset:1056
	ds_read_b128 v[5:8], v26 offset:1072
	v_add_f32_e32 v0, v0, v9
	s_waitcnt lgkmcnt(2)
	v_add_f32_e32 v9, v27, v22
	v_add_f32_e32 v0, v0, v10
	v_add_f32_e32 v9, v9, v23
	v_add_f32_e32 v0, v0, v11
	v_add_f32_e32 v9, v9, v24
	v_add_f32_e32 v0, v0, v12
	v_add_f32_e32 v9, v9, v25
	v_add_f32_e32 v0, v0, v13
	s_waitcnt lgkmcnt(1)
	v_add_f32_e32 v1, v9, v1
	v_add_f32_e32 v0, v0, v14
	;; [unrolled: 1-line block ×8, first 2 shown]
	s_waitcnt lgkmcnt(0)
	v_add_f32_e32 v1, v1, v5
	v_add_f32_e32 v0, v0, v18
	;; [unrolled: 1-line block ×4, first 2 shown]
	s_add_i32 s0, s0, 64
	v_add_f32_e32 v1, v1, v7
	v_add_f32_e32 v0, v0, v20
	s_cmpk_eq_i32 s0, 0x400
	v_add_f32_e32 v1, v1, v8
	v_add_f32_e32 v0, v0, v21
	s_cbranch_scc0 .LBB2_11
; %bb.12:
	v_div_scale_f32 v2, s[0:1], v0, v0, v1
	v_div_scale_f32 v3, vcc, v1, v0, v1
	s_load_dword s0, s[4:5], 0x28
	s_waitcnt lgkmcnt(0)
	s_bitcmp1_b32 s0, 0
	v_rcp_f32_e32 v4, v2
	v_fma_f32 v5, -v2, v4, 1.0
	v_fmac_f32_e32 v4, v5, v4
	v_mul_f32_e32 v5, v3, v4
	v_fma_f32 v6, -v2, v5, v3
	v_fmac_f32_e32 v5, v6, v4
	v_fma_f32 v2, -v2, v5, v3
	v_div_fmas_f32 v2, v2, v4, v5
	v_mov_b32_e32 v3, 0
	global_store_dword v3, v0, s[10:11]
	s_cselect_b64 vcc, -1, 0
	v_div_fixup_f32 v0, v2, v0, v1
	v_cndmask_b32_e32 v0, v1, v0, vcc
	global_store_dword v3, v0, s[8:9]
.LBB2_13:
	s_endpgm
	.section	.rodata,"a",@progbits
	.p2align	6, 0x0
	.amdhsa_kernel _Z32nll_loss_forward_reduce2d_kernelIffiLi256EEvPT_S1_PKS0_PKT1_S3_blll
		.amdhsa_group_segment_fixed_size 2048
		.amdhsa_private_segment_fixed_size 0
		.amdhsa_kernarg_size 72
		.amdhsa_user_sgpr_count 6
		.amdhsa_user_sgpr_private_segment_buffer 1
		.amdhsa_user_sgpr_dispatch_ptr 0
		.amdhsa_user_sgpr_queue_ptr 0
		.amdhsa_user_sgpr_kernarg_segment_ptr 1
		.amdhsa_user_sgpr_dispatch_id 0
		.amdhsa_user_sgpr_flat_scratch_init 0
		.amdhsa_user_sgpr_private_segment_size 0
		.amdhsa_uses_dynamic_stack 0
		.amdhsa_system_sgpr_private_segment_wavefront_offset 0
		.amdhsa_system_sgpr_workgroup_id_x 1
		.amdhsa_system_sgpr_workgroup_id_y 0
		.amdhsa_system_sgpr_workgroup_id_z 0
		.amdhsa_system_sgpr_workgroup_info 0
		.amdhsa_system_vgpr_workitem_id 0
		.amdhsa_next_free_vgpr 29
		.amdhsa_next_free_sgpr 61
		.amdhsa_reserve_vcc 1
		.amdhsa_reserve_flat_scratch 0
		.amdhsa_float_round_mode_32 0
		.amdhsa_float_round_mode_16_64 0
		.amdhsa_float_denorm_mode_32 3
		.amdhsa_float_denorm_mode_16_64 3
		.amdhsa_dx10_clamp 1
		.amdhsa_ieee_mode 1
		.amdhsa_fp16_overflow 0
		.amdhsa_exception_fp_ieee_invalid_op 0
		.amdhsa_exception_fp_denorm_src 0
		.amdhsa_exception_fp_ieee_div_zero 0
		.amdhsa_exception_fp_ieee_overflow 0
		.amdhsa_exception_fp_ieee_underflow 0
		.amdhsa_exception_fp_ieee_inexact 0
		.amdhsa_exception_int_div_zero 0
	.end_amdhsa_kernel
	.section	.text._Z32nll_loss_forward_reduce2d_kernelIffiLi256EEvPT_S1_PKS0_PKT1_S3_blll,"axG",@progbits,_Z32nll_loss_forward_reduce2d_kernelIffiLi256EEvPT_S1_PKS0_PKT1_S3_blll,comdat
.Lfunc_end2:
	.size	_Z32nll_loss_forward_reduce2d_kernelIffiLi256EEvPT_S1_PKS0_PKT1_S3_blll, .Lfunc_end2-_Z32nll_loss_forward_reduce2d_kernelIffiLi256EEvPT_S1_PKS0_PKT1_S3_blll
                                        ; -- End function
	.set _Z32nll_loss_forward_reduce2d_kernelIffiLi256EEvPT_S1_PKS0_PKT1_S3_blll.num_vgpr, 28
	.set _Z32nll_loss_forward_reduce2d_kernelIffiLi256EEvPT_S1_PKS0_PKT1_S3_blll.num_agpr, 0
	.set _Z32nll_loss_forward_reduce2d_kernelIffiLi256EEvPT_S1_PKS0_PKT1_S3_blll.numbered_sgpr, 28
	.set _Z32nll_loss_forward_reduce2d_kernelIffiLi256EEvPT_S1_PKS0_PKT1_S3_blll.num_named_barrier, 0
	.set _Z32nll_loss_forward_reduce2d_kernelIffiLi256EEvPT_S1_PKS0_PKT1_S3_blll.private_seg_size, 0
	.set _Z32nll_loss_forward_reduce2d_kernelIffiLi256EEvPT_S1_PKS0_PKT1_S3_blll.uses_vcc, 1
	.set _Z32nll_loss_forward_reduce2d_kernelIffiLi256EEvPT_S1_PKS0_PKT1_S3_blll.uses_flat_scratch, 0
	.set _Z32nll_loss_forward_reduce2d_kernelIffiLi256EEvPT_S1_PKS0_PKT1_S3_blll.has_dyn_sized_stack, 0
	.set _Z32nll_loss_forward_reduce2d_kernelIffiLi256EEvPT_S1_PKS0_PKT1_S3_blll.has_recursion, 0
	.set _Z32nll_loss_forward_reduce2d_kernelIffiLi256EEvPT_S1_PKS0_PKT1_S3_blll.has_indirect_call, 0
	.section	.AMDGPU.csdata,"",@progbits
; Kernel info:
; codeLenInByte = 736
; TotalNumSgprs: 32
; NumVgprs: 28
; ScratchSize: 0
; MemoryBound: 0
; FloatMode: 240
; IeeeMode: 1
; LDSByteSize: 2048 bytes/workgroup (compile time only)
; SGPRBlocks: 8
; VGPRBlocks: 7
; NumSGPRsForWavesPerEU: 65
; NumVGPRsForWavesPerEU: 29
; Occupancy: 8
; WaveLimiterHint : 1
; COMPUTE_PGM_RSRC2:SCRATCH_EN: 0
; COMPUTE_PGM_RSRC2:USER_SGPR: 6
; COMPUTE_PGM_RSRC2:TRAP_HANDLER: 0
; COMPUTE_PGM_RSRC2:TGID_X_EN: 1
; COMPUTE_PGM_RSRC2:TGID_Y_EN: 0
; COMPUTE_PGM_RSRC2:TGID_Z_EN: 0
; COMPUTE_PGM_RSRC2:TIDIG_COMP_CNT: 0
	.section	.text._Z32nll_loss_forward_reduce2d_kernelIffiLi512EEvPT_S1_PKS0_PKT1_S3_blll,"axG",@progbits,_Z32nll_loss_forward_reduce2d_kernelIffiLi512EEvPT_S1_PKS0_PKT1_S3_blll,comdat
	.protected	_Z32nll_loss_forward_reduce2d_kernelIffiLi512EEvPT_S1_PKS0_PKT1_S3_blll ; -- Begin function _Z32nll_loss_forward_reduce2d_kernelIffiLi512EEvPT_S1_PKS0_PKT1_S3_blll
	.globl	_Z32nll_loss_forward_reduce2d_kernelIffiLi512EEvPT_S1_PKS0_PKT1_S3_blll
	.p2align	8
	.type	_Z32nll_loss_forward_reduce2d_kernelIffiLi512EEvPT_S1_PKS0_PKT1_S3_blll,@function
_Z32nll_loss_forward_reduce2d_kernelIffiLi512EEvPT_S1_PKS0_PKT1_S3_blll: ; @_Z32nll_loss_forward_reduce2d_kernelIffiLi512EEvPT_S1_PKS0_PKT1_S3_blll
; %bb.0:
	s_load_dwordx4 s[12:15], s[4:5], 0x30
	s_load_dwordx4 s[8:11], s[4:5], 0x0
	v_mov_b32_e32 v1, 0
	v_lshlrev_b32_e32 v8, 2, v0
	ds_write2st64_b32 v8, v1, v1 offset1:8
	s_waitcnt lgkmcnt(0)
	v_cmp_gt_i64_e32 vcc, s[12:13], v[0:1]
	s_and_saveexec_b64 s[6:7], vcc
	s_cbranch_execz .LBB3_8
; %bb.1:
	v_mad_u64_u32 v[2:3], s[0:1], s14, v0, 0
	s_load_dwordx4 s[0:3], s[4:5], 0x10
	s_load_dwordx2 s[16:17], s[4:5], 0x20
	s_load_dwordx2 s[18:19], s[4:5], 0x40
	v_add_u32_e32 v9, 0x800, v8
	v_mad_u64_u32 v[3:4], s[20:21], s15, v0, v[3:4]
	s_waitcnt lgkmcnt(0)
	s_cmp_lg_u64 s[16:17], 0
	s_cselect_b64 s[22:23], -1, 0
	v_lshlrev_b64 v[2:3], 2, v[2:3]
	v_mov_b32_e32 v4, s1
	v_add_co_u32_e32 v10, vcc, s0, v2
	v_addc_co_u32_e32 v11, vcc, v4, v3, vcc
	v_lshlrev_b32_e32 v2, 2, v0
	v_cndmask_b32_e64 v4, 0, 1, s[22:23]
	s_lshl_b64 s[14:15], s[14:15], 11
	v_mov_b32_e32 v3, s3
	v_add_co_u32_e32 v2, vcc, s2, v2
	v_cmp_ne_u32_e64 s[0:1], 1, v4
	v_mov_b32_e32 v5, v1
	s_mov_b64 s[20:21], 0
	v_addc_co_u32_e32 v3, vcc, 0, v3, vcc
	v_mov_b32_e32 v12, s15
	v_mov_b32_e32 v13, v1
	v_mov_b32_e32 v4, v0
	s_branch .LBB3_5
.LBB3_2:                                ;   in Loop: Header=BB3_5 Depth=1
	v_mov_b32_e32 v15, s17
	v_add_co_u32_e32 v14, vcc, s16, v6
	v_addc_co_u32_e32 v15, vcc, v15, v7, vcc
	global_load_dword v14, v[14:15], off
.LBB3_3:                                ;   in Loop: Header=BB3_5 Depth=1
	v_add_co_u32_e32 v6, vcc, v10, v6
	v_addc_co_u32_e32 v7, vcc, v11, v7, vcc
	global_load_dword v6, v[6:7], off
	s_waitcnt vmcnt(1)
	v_add_f32_e32 v1, v14, v1
	s_waitcnt vmcnt(0)
	v_fma_f32 v13, -v14, v6, v13
	ds_write_b32 v9, v13
	ds_write_b32 v8, v1
.LBB3_4:                                ;   in Loop: Header=BB3_5 Depth=1
	s_or_b64 exec, exec, s[2:3]
	v_add_co_u32_e32 v4, vcc, 0x200, v4
	v_addc_co_u32_e32 v5, vcc, 0, v5, vcc
	v_add_co_u32_e32 v10, vcc, s14, v10
	v_addc_co_u32_e32 v11, vcc, v11, v12, vcc
	v_cmp_le_i64_e64 s[2:3], s[12:13], v[4:5]
	v_add_co_u32_e32 v2, vcc, 0x800, v2
	s_or_b64 s[20:21], s[2:3], s[20:21]
	v_addc_co_u32_e32 v3, vcc, 0, v3, vcc
	s_andn2_b64 exec, exec, s[20:21]
	s_cbranch_execz .LBB3_8
.LBB3_5:                                ; =>This Inner Loop Header: Depth=1
	global_load_dword v6, v[2:3], off
	s_waitcnt vmcnt(0)
	v_ashrrev_i32_e32 v7, 31, v6
	v_cmp_ne_u64_e32 vcc, s[18:19], v[6:7]
	s_and_saveexec_b64 s[2:3], vcc
	s_cbranch_execz .LBB3_4
; %bb.6:                                ;   in Loop: Header=BB3_5 Depth=1
	v_lshlrev_b64 v[6:7], 2, v[6:7]
	s_and_b64 vcc, exec, s[0:1]
	s_cbranch_vccz .LBB3_2
; %bb.7:                                ;   in Loop: Header=BB3_5 Depth=1
	v_mov_b32_e32 v14, 1.0
	s_branch .LBB3_3
.LBB3_8:
	s_or_b64 exec, exec, s[6:7]
; %bb.9:
	s_mov_b32 s0, 0
	v_cmp_eq_u32_e32 vcc, 0, v0
	s_waitcnt lgkmcnt(0)
	s_barrier
	s_and_saveexec_b64 s[2:3], vcc
	s_cbranch_execz .LBB3_13
; %bb.10:
	v_mov_b32_e32 v0, 0
	v_mov_b32_e32 v1, 0
.LBB3_11:                               ; =>This Inner Loop Header: Depth=1
	v_mov_b32_e32 v26, s0
	ds_read_b128 v[2:5], v26 offset:2048
	ds_read_b128 v[6:9], v26
	ds_read_b128 v[10:13], v26 offset:16
	ds_read_b128 v[14:17], v26 offset:32
	;; [unrolled: 1-line block ×4, first 2 shown]
	s_waitcnt lgkmcnt(5)
	v_add_f32_e32 v1, v1, v2
	s_waitcnt lgkmcnt(4)
	v_add_f32_e32 v0, v0, v6
	v_add_f32_e32 v1, v1, v3
	v_add_f32_e32 v0, v0, v7
	v_add_f32_e32 v1, v1, v4
	v_add_f32_e32 v0, v0, v8
	v_add_f32_e32 v27, v1, v5
	ds_read_b128 v[1:4], v26 offset:2080
	ds_read_b128 v[5:8], v26 offset:2096
	v_add_f32_e32 v0, v0, v9
	s_waitcnt lgkmcnt(2)
	v_add_f32_e32 v9, v27, v22
	v_add_f32_e32 v0, v0, v10
	;; [unrolled: 1-line block ×8, first 2 shown]
	s_waitcnt lgkmcnt(1)
	v_add_f32_e32 v1, v9, v1
	v_add_f32_e32 v0, v0, v14
	;; [unrolled: 1-line block ×8, first 2 shown]
	s_waitcnt lgkmcnt(0)
	v_add_f32_e32 v1, v1, v5
	v_add_f32_e32 v0, v0, v18
	;; [unrolled: 1-line block ×4, first 2 shown]
	s_add_i32 s0, s0, 64
	v_add_f32_e32 v1, v1, v7
	v_add_f32_e32 v0, v0, v20
	s_cmpk_eq_i32 s0, 0x800
	v_add_f32_e32 v1, v1, v8
	v_add_f32_e32 v0, v0, v21
	s_cbranch_scc0 .LBB3_11
; %bb.12:
	v_div_scale_f32 v2, s[0:1], v0, v0, v1
	v_div_scale_f32 v3, vcc, v1, v0, v1
	s_load_dword s0, s[4:5], 0x28
	s_waitcnt lgkmcnt(0)
	s_bitcmp1_b32 s0, 0
	v_rcp_f32_e32 v4, v2
	v_fma_f32 v5, -v2, v4, 1.0
	v_fmac_f32_e32 v4, v5, v4
	v_mul_f32_e32 v5, v3, v4
	v_fma_f32 v6, -v2, v5, v3
	v_fmac_f32_e32 v5, v6, v4
	v_fma_f32 v2, -v2, v5, v3
	v_div_fmas_f32 v2, v2, v4, v5
	v_mov_b32_e32 v3, 0
	global_store_dword v3, v0, s[10:11]
	s_cselect_b64 vcc, -1, 0
	v_div_fixup_f32 v0, v2, v0, v1
	v_cndmask_b32_e32 v0, v1, v0, vcc
	global_store_dword v3, v0, s[8:9]
.LBB3_13:
	s_endpgm
	.section	.rodata,"a",@progbits
	.p2align	6, 0x0
	.amdhsa_kernel _Z32nll_loss_forward_reduce2d_kernelIffiLi512EEvPT_S1_PKS0_PKT1_S3_blll
		.amdhsa_group_segment_fixed_size 4096
		.amdhsa_private_segment_fixed_size 0
		.amdhsa_kernarg_size 72
		.amdhsa_user_sgpr_count 6
		.amdhsa_user_sgpr_private_segment_buffer 1
		.amdhsa_user_sgpr_dispatch_ptr 0
		.amdhsa_user_sgpr_queue_ptr 0
		.amdhsa_user_sgpr_kernarg_segment_ptr 1
		.amdhsa_user_sgpr_dispatch_id 0
		.amdhsa_user_sgpr_flat_scratch_init 0
		.amdhsa_user_sgpr_private_segment_size 0
		.amdhsa_uses_dynamic_stack 0
		.amdhsa_system_sgpr_private_segment_wavefront_offset 0
		.amdhsa_system_sgpr_workgroup_id_x 1
		.amdhsa_system_sgpr_workgroup_id_y 0
		.amdhsa_system_sgpr_workgroup_id_z 0
		.amdhsa_system_sgpr_workgroup_info 0
		.amdhsa_system_vgpr_workitem_id 0
		.amdhsa_next_free_vgpr 29
		.amdhsa_next_free_sgpr 61
		.amdhsa_reserve_vcc 1
		.amdhsa_reserve_flat_scratch 0
		.amdhsa_float_round_mode_32 0
		.amdhsa_float_round_mode_16_64 0
		.amdhsa_float_denorm_mode_32 3
		.amdhsa_float_denorm_mode_16_64 3
		.amdhsa_dx10_clamp 1
		.amdhsa_ieee_mode 1
		.amdhsa_fp16_overflow 0
		.amdhsa_exception_fp_ieee_invalid_op 0
		.amdhsa_exception_fp_denorm_src 0
		.amdhsa_exception_fp_ieee_div_zero 0
		.amdhsa_exception_fp_ieee_overflow 0
		.amdhsa_exception_fp_ieee_underflow 0
		.amdhsa_exception_fp_ieee_inexact 0
		.amdhsa_exception_int_div_zero 0
	.end_amdhsa_kernel
	.section	.text._Z32nll_loss_forward_reduce2d_kernelIffiLi512EEvPT_S1_PKS0_PKT1_S3_blll,"axG",@progbits,_Z32nll_loss_forward_reduce2d_kernelIffiLi512EEvPT_S1_PKS0_PKT1_S3_blll,comdat
.Lfunc_end3:
	.size	_Z32nll_loss_forward_reduce2d_kernelIffiLi512EEvPT_S1_PKS0_PKT1_S3_blll, .Lfunc_end3-_Z32nll_loss_forward_reduce2d_kernelIffiLi512EEvPT_S1_PKS0_PKT1_S3_blll
                                        ; -- End function
	.set _Z32nll_loss_forward_reduce2d_kernelIffiLi512EEvPT_S1_PKS0_PKT1_S3_blll.num_vgpr, 28
	.set _Z32nll_loss_forward_reduce2d_kernelIffiLi512EEvPT_S1_PKS0_PKT1_S3_blll.num_agpr, 0
	.set _Z32nll_loss_forward_reduce2d_kernelIffiLi512EEvPT_S1_PKS0_PKT1_S3_blll.numbered_sgpr, 24
	.set _Z32nll_loss_forward_reduce2d_kernelIffiLi512EEvPT_S1_PKS0_PKT1_S3_blll.num_named_barrier, 0
	.set _Z32nll_loss_forward_reduce2d_kernelIffiLi512EEvPT_S1_PKS0_PKT1_S3_blll.private_seg_size, 0
	.set _Z32nll_loss_forward_reduce2d_kernelIffiLi512EEvPT_S1_PKS0_PKT1_S3_blll.uses_vcc, 1
	.set _Z32nll_loss_forward_reduce2d_kernelIffiLi512EEvPT_S1_PKS0_PKT1_S3_blll.uses_flat_scratch, 0
	.set _Z32nll_loss_forward_reduce2d_kernelIffiLi512EEvPT_S1_PKS0_PKT1_S3_blll.has_dyn_sized_stack, 0
	.set _Z32nll_loss_forward_reduce2d_kernelIffiLi512EEvPT_S1_PKS0_PKT1_S3_blll.has_recursion, 0
	.set _Z32nll_loss_forward_reduce2d_kernelIffiLi512EEvPT_S1_PKS0_PKT1_S3_blll.has_indirect_call, 0
	.section	.AMDGPU.csdata,"",@progbits
; Kernel info:
; codeLenInByte = 752
; TotalNumSgprs: 28
; NumVgprs: 28
; ScratchSize: 0
; MemoryBound: 0
; FloatMode: 240
; IeeeMode: 1
; LDSByteSize: 4096 bytes/workgroup (compile time only)
; SGPRBlocks: 8
; VGPRBlocks: 7
; NumSGPRsForWavesPerEU: 65
; NumVGPRsForWavesPerEU: 29
; Occupancy: 8
; WaveLimiterHint : 1
; COMPUTE_PGM_RSRC2:SCRATCH_EN: 0
; COMPUTE_PGM_RSRC2:USER_SGPR: 6
; COMPUTE_PGM_RSRC2:TRAP_HANDLER: 0
; COMPUTE_PGM_RSRC2:TGID_X_EN: 1
; COMPUTE_PGM_RSRC2:TGID_Y_EN: 0
; COMPUTE_PGM_RSRC2:TGID_Z_EN: 0
; COMPUTE_PGM_RSRC2:TIDIG_COMP_CNT: 0
	.section	.text._Z32nll_loss_forward_reduce2d_kernelIffiLi1024EEvPT_S1_PKS0_PKT1_S3_blll,"axG",@progbits,_Z32nll_loss_forward_reduce2d_kernelIffiLi1024EEvPT_S1_PKS0_PKT1_S3_blll,comdat
	.protected	_Z32nll_loss_forward_reduce2d_kernelIffiLi1024EEvPT_S1_PKS0_PKT1_S3_blll ; -- Begin function _Z32nll_loss_forward_reduce2d_kernelIffiLi1024EEvPT_S1_PKS0_PKT1_S3_blll
	.globl	_Z32nll_loss_forward_reduce2d_kernelIffiLi1024EEvPT_S1_PKS0_PKT1_S3_blll
	.p2align	8
	.type	_Z32nll_loss_forward_reduce2d_kernelIffiLi1024EEvPT_S1_PKS0_PKT1_S3_blll,@function
_Z32nll_loss_forward_reduce2d_kernelIffiLi1024EEvPT_S1_PKS0_PKT1_S3_blll: ; @_Z32nll_loss_forward_reduce2d_kernelIffiLi1024EEvPT_S1_PKS0_PKT1_S3_blll
; %bb.0:
	s_load_dwordx4 s[12:15], s[4:5], 0x30
	s_load_dwordx4 s[8:11], s[4:5], 0x0
	v_mov_b32_e32 v1, 0
	v_lshlrev_b32_e32 v8, 2, v0
	ds_write2st64_b32 v8, v1, v1 offset1:16
	s_waitcnt lgkmcnt(0)
	v_cmp_gt_i64_e32 vcc, s[12:13], v[0:1]
	s_and_saveexec_b64 s[6:7], vcc
	s_cbranch_execz .LBB4_8
; %bb.1:
	v_mad_u64_u32 v[2:3], s[0:1], s14, v0, 0
	s_load_dwordx4 s[0:3], s[4:5], 0x10
	s_load_dwordx2 s[16:17], s[4:5], 0x20
	s_load_dwordx2 s[18:19], s[4:5], 0x40
	v_or_b32_e32 v9, 0x1000, v8
	v_mad_u64_u32 v[3:4], s[20:21], s15, v0, v[3:4]
	s_waitcnt lgkmcnt(0)
	s_cmp_lg_u64 s[16:17], 0
	s_cselect_b64 s[22:23], -1, 0
	v_lshlrev_b64 v[2:3], 2, v[2:3]
	v_mov_b32_e32 v4, s1
	v_add_co_u32_e32 v10, vcc, s0, v2
	v_addc_co_u32_e32 v11, vcc, v4, v3, vcc
	v_lshlrev_b32_e32 v2, 2, v0
	v_cndmask_b32_e64 v4, 0, 1, s[22:23]
	s_lshl_b64 s[14:15], s[14:15], 12
	v_mov_b32_e32 v3, s3
	v_add_co_u32_e32 v2, vcc, s2, v2
	v_cmp_ne_u32_e64 s[0:1], 1, v4
	v_mov_b32_e32 v5, v1
	s_mov_b64 s[20:21], 0
	v_addc_co_u32_e32 v3, vcc, 0, v3, vcc
	v_mov_b32_e32 v12, s15
	v_mov_b32_e32 v13, v1
	;; [unrolled: 1-line block ×3, first 2 shown]
	s_branch .LBB4_5
.LBB4_2:                                ;   in Loop: Header=BB4_5 Depth=1
	v_mov_b32_e32 v15, s17
	v_add_co_u32_e32 v14, vcc, s16, v6
	v_addc_co_u32_e32 v15, vcc, v15, v7, vcc
	global_load_dword v14, v[14:15], off
.LBB4_3:                                ;   in Loop: Header=BB4_5 Depth=1
	v_add_co_u32_e32 v6, vcc, v10, v6
	v_addc_co_u32_e32 v7, vcc, v11, v7, vcc
	global_load_dword v6, v[6:7], off
	s_waitcnt vmcnt(1)
	v_add_f32_e32 v1, v14, v1
	s_waitcnt vmcnt(0)
	v_fma_f32 v13, -v14, v6, v13
	ds_write_b32 v9, v13
	ds_write_b32 v8, v1
.LBB4_4:                                ;   in Loop: Header=BB4_5 Depth=1
	s_or_b64 exec, exec, s[2:3]
	v_add_co_u32_e32 v4, vcc, 0x400, v4
	v_addc_co_u32_e32 v5, vcc, 0, v5, vcc
	v_add_co_u32_e32 v10, vcc, s14, v10
	v_addc_co_u32_e32 v11, vcc, v11, v12, vcc
	v_cmp_le_i64_e64 s[2:3], s[12:13], v[4:5]
	v_add_co_u32_e32 v2, vcc, 0x1000, v2
	s_or_b64 s[20:21], s[2:3], s[20:21]
	v_addc_co_u32_e32 v3, vcc, 0, v3, vcc
	s_andn2_b64 exec, exec, s[20:21]
	s_cbranch_execz .LBB4_8
.LBB4_5:                                ; =>This Inner Loop Header: Depth=1
	global_load_dword v6, v[2:3], off
	s_waitcnt vmcnt(0)
	v_ashrrev_i32_e32 v7, 31, v6
	v_cmp_ne_u64_e32 vcc, s[18:19], v[6:7]
	s_and_saveexec_b64 s[2:3], vcc
	s_cbranch_execz .LBB4_4
; %bb.6:                                ;   in Loop: Header=BB4_5 Depth=1
	v_lshlrev_b64 v[6:7], 2, v[6:7]
	s_and_b64 vcc, exec, s[0:1]
	s_cbranch_vccz .LBB4_2
; %bb.7:                                ;   in Loop: Header=BB4_5 Depth=1
	v_mov_b32_e32 v14, 1.0
	s_branch .LBB4_3
.LBB4_8:
	s_or_b64 exec, exec, s[6:7]
; %bb.9:
	s_mov_b32 s0, 0
	v_cmp_eq_u32_e32 vcc, 0, v0
	s_waitcnt lgkmcnt(0)
	s_barrier
	s_and_saveexec_b64 s[2:3], vcc
	s_cbranch_execz .LBB4_13
; %bb.10:
	v_mov_b32_e32 v0, 0
	v_mov_b32_e32 v1, 0
.LBB4_11:                               ; =>This Inner Loop Header: Depth=1
	v_mov_b32_e32 v26, s0
	ds_read_b128 v[2:5], v26 offset:4096
	ds_read_b128 v[6:9], v26
	ds_read_b128 v[10:13], v26 offset:16
	ds_read_b128 v[14:17], v26 offset:32
	;; [unrolled: 1-line block ×4, first 2 shown]
	s_waitcnt lgkmcnt(5)
	v_add_f32_e32 v1, v1, v2
	s_waitcnt lgkmcnt(4)
	v_add_f32_e32 v0, v0, v6
	v_add_f32_e32 v1, v1, v3
	;; [unrolled: 1-line block ×6, first 2 shown]
	ds_read_b128 v[1:4], v26 offset:4128
	ds_read_b128 v[5:8], v26 offset:4144
	v_add_f32_e32 v0, v0, v9
	s_waitcnt lgkmcnt(2)
	v_add_f32_e32 v9, v27, v22
	v_add_f32_e32 v0, v0, v10
	;; [unrolled: 1-line block ×8, first 2 shown]
	s_waitcnt lgkmcnt(1)
	v_add_f32_e32 v1, v9, v1
	v_add_f32_e32 v0, v0, v14
	;; [unrolled: 1-line block ×8, first 2 shown]
	s_waitcnt lgkmcnt(0)
	v_add_f32_e32 v1, v1, v5
	v_add_f32_e32 v0, v0, v18
	v_add_f32_e32 v1, v1, v6
	v_add_f32_e32 v0, v0, v19
	s_add_i32 s0, s0, 64
	v_add_f32_e32 v1, v1, v7
	v_add_f32_e32 v0, v0, v20
	s_cmpk_eq_i32 s0, 0x1000
	v_add_f32_e32 v1, v1, v8
	v_add_f32_e32 v0, v0, v21
	s_cbranch_scc0 .LBB4_11
; %bb.12:
	v_div_scale_f32 v2, s[0:1], v0, v0, v1
	v_div_scale_f32 v3, vcc, v1, v0, v1
	s_load_dword s0, s[4:5], 0x28
	s_waitcnt lgkmcnt(0)
	s_bitcmp1_b32 s0, 0
	v_rcp_f32_e32 v4, v2
	v_fma_f32 v5, -v2, v4, 1.0
	v_fmac_f32_e32 v4, v5, v4
	v_mul_f32_e32 v5, v3, v4
	v_fma_f32 v6, -v2, v5, v3
	v_fmac_f32_e32 v5, v6, v4
	v_fma_f32 v2, -v2, v5, v3
	v_div_fmas_f32 v2, v2, v4, v5
	v_mov_b32_e32 v3, 0
	global_store_dword v3, v0, s[10:11]
	s_cselect_b64 vcc, -1, 0
	v_div_fixup_f32 v0, v2, v0, v1
	v_cndmask_b32_e32 v0, v1, v0, vcc
	global_store_dword v3, v0, s[8:9]
.LBB4_13:
	s_endpgm
	.section	.rodata,"a",@progbits
	.p2align	6, 0x0
	.amdhsa_kernel _Z32nll_loss_forward_reduce2d_kernelIffiLi1024EEvPT_S1_PKS0_PKT1_S3_blll
		.amdhsa_group_segment_fixed_size 8192
		.amdhsa_private_segment_fixed_size 0
		.amdhsa_kernarg_size 72
		.amdhsa_user_sgpr_count 6
		.amdhsa_user_sgpr_private_segment_buffer 1
		.amdhsa_user_sgpr_dispatch_ptr 0
		.amdhsa_user_sgpr_queue_ptr 0
		.amdhsa_user_sgpr_kernarg_segment_ptr 1
		.amdhsa_user_sgpr_dispatch_id 0
		.amdhsa_user_sgpr_flat_scratch_init 0
		.amdhsa_user_sgpr_private_segment_size 0
		.amdhsa_uses_dynamic_stack 0
		.amdhsa_system_sgpr_private_segment_wavefront_offset 0
		.amdhsa_system_sgpr_workgroup_id_x 1
		.amdhsa_system_sgpr_workgroup_id_y 0
		.amdhsa_system_sgpr_workgroup_id_z 0
		.amdhsa_system_sgpr_workgroup_info 0
		.amdhsa_system_vgpr_workitem_id 0
		.amdhsa_next_free_vgpr 29
		.amdhsa_next_free_sgpr 61
		.amdhsa_reserve_vcc 1
		.amdhsa_reserve_flat_scratch 0
		.amdhsa_float_round_mode_32 0
		.amdhsa_float_round_mode_16_64 0
		.amdhsa_float_denorm_mode_32 3
		.amdhsa_float_denorm_mode_16_64 3
		.amdhsa_dx10_clamp 1
		.amdhsa_ieee_mode 1
		.amdhsa_fp16_overflow 0
		.amdhsa_exception_fp_ieee_invalid_op 0
		.amdhsa_exception_fp_denorm_src 0
		.amdhsa_exception_fp_ieee_div_zero 0
		.amdhsa_exception_fp_ieee_overflow 0
		.amdhsa_exception_fp_ieee_underflow 0
		.amdhsa_exception_fp_ieee_inexact 0
		.amdhsa_exception_int_div_zero 0
	.end_amdhsa_kernel
	.section	.text._Z32nll_loss_forward_reduce2d_kernelIffiLi1024EEvPT_S1_PKS0_PKT1_S3_blll,"axG",@progbits,_Z32nll_loss_forward_reduce2d_kernelIffiLi1024EEvPT_S1_PKS0_PKT1_S3_blll,comdat
.Lfunc_end4:
	.size	_Z32nll_loss_forward_reduce2d_kernelIffiLi1024EEvPT_S1_PKS0_PKT1_S3_blll, .Lfunc_end4-_Z32nll_loss_forward_reduce2d_kernelIffiLi1024EEvPT_S1_PKS0_PKT1_S3_blll
                                        ; -- End function
	.set _Z32nll_loss_forward_reduce2d_kernelIffiLi1024EEvPT_S1_PKS0_PKT1_S3_blll.num_vgpr, 28
	.set _Z32nll_loss_forward_reduce2d_kernelIffiLi1024EEvPT_S1_PKS0_PKT1_S3_blll.num_agpr, 0
	.set _Z32nll_loss_forward_reduce2d_kernelIffiLi1024EEvPT_S1_PKS0_PKT1_S3_blll.numbered_sgpr, 24
	.set _Z32nll_loss_forward_reduce2d_kernelIffiLi1024EEvPT_S1_PKS0_PKT1_S3_blll.num_named_barrier, 0
	.set _Z32nll_loss_forward_reduce2d_kernelIffiLi1024EEvPT_S1_PKS0_PKT1_S3_blll.private_seg_size, 0
	.set _Z32nll_loss_forward_reduce2d_kernelIffiLi1024EEvPT_S1_PKS0_PKT1_S3_blll.uses_vcc, 1
	.set _Z32nll_loss_forward_reduce2d_kernelIffiLi1024EEvPT_S1_PKS0_PKT1_S3_blll.uses_flat_scratch, 0
	.set _Z32nll_loss_forward_reduce2d_kernelIffiLi1024EEvPT_S1_PKS0_PKT1_S3_blll.has_dyn_sized_stack, 0
	.set _Z32nll_loss_forward_reduce2d_kernelIffiLi1024EEvPT_S1_PKS0_PKT1_S3_blll.has_recursion, 0
	.set _Z32nll_loss_forward_reduce2d_kernelIffiLi1024EEvPT_S1_PKS0_PKT1_S3_blll.has_indirect_call, 0
	.section	.AMDGPU.csdata,"",@progbits
; Kernel info:
; codeLenInByte = 752
; TotalNumSgprs: 28
; NumVgprs: 28
; ScratchSize: 0
; MemoryBound: 0
; FloatMode: 240
; IeeeMode: 1
; LDSByteSize: 8192 bytes/workgroup (compile time only)
; SGPRBlocks: 8
; VGPRBlocks: 7
; NumSGPRsForWavesPerEU: 65
; NumVGPRsForWavesPerEU: 29
; Occupancy: 8
; WaveLimiterHint : 1
; COMPUTE_PGM_RSRC2:SCRATCH_EN: 0
; COMPUTE_PGM_RSRC2:USER_SGPR: 6
; COMPUTE_PGM_RSRC2:TRAP_HANDLER: 0
; COMPUTE_PGM_RSRC2:TGID_X_EN: 1
; COMPUTE_PGM_RSRC2:TGID_Y_EN: 0
; COMPUTE_PGM_RSRC2:TGID_Z_EN: 0
; COMPUTE_PGM_RSRC2:TIDIG_COMP_CNT: 0
	.section	.text._Z32nll_loss_forward_reduce2d_kernelI6__halfS0_iLi64EEvPT_S2_PKS1_PKT1_S4_blll,"axG",@progbits,_Z32nll_loss_forward_reduce2d_kernelI6__halfS0_iLi64EEvPT_S2_PKS1_PKT1_S4_blll,comdat
	.protected	_Z32nll_loss_forward_reduce2d_kernelI6__halfS0_iLi64EEvPT_S2_PKS1_PKT1_S4_blll ; -- Begin function _Z32nll_loss_forward_reduce2d_kernelI6__halfS0_iLi64EEvPT_S2_PKS1_PKT1_S4_blll
	.globl	_Z32nll_loss_forward_reduce2d_kernelI6__halfS0_iLi64EEvPT_S2_PKS1_PKT1_S4_blll
	.p2align	8
	.type	_Z32nll_loss_forward_reduce2d_kernelI6__halfS0_iLi64EEvPT_S2_PKS1_PKT1_S4_blll,@function
_Z32nll_loss_forward_reduce2d_kernelI6__halfS0_iLi64EEvPT_S2_PKS1_PKT1_S4_blll: ; @_Z32nll_loss_forward_reduce2d_kernelI6__halfS0_iLi64EEvPT_S2_PKS1_PKT1_S4_blll
; %bb.0:
	s_load_dwordx4 s[12:15], s[4:5], 0x30
	s_load_dwordx4 s[8:11], s[4:5], 0x0
	v_mov_b32_e32 v1, 0
	v_lshlrev_b32_e32 v8, 1, v0
	ds_write_b16 v8, v1 offset:128
	s_waitcnt lgkmcnt(0)
	v_cmp_gt_i64_e32 vcc, s[12:13], v[0:1]
	ds_write_b16 v8, v1
	s_and_saveexec_b64 s[6:7], vcc
	s_cbranch_execz .LBB5_8
; %bb.1:
	v_mad_u64_u32 v[2:3], s[0:1], s14, v0, 0
	s_load_dwordx4 s[0:3], s[4:5], 0x10
	s_load_dwordx2 s[16:17], s[4:5], 0x20
	s_load_dwordx2 s[18:19], s[4:5], 0x40
	v_add_u32_e32 v9, 0x80, v8
	v_mad_u64_u32 v[3:4], s[20:21], s15, v0, v[3:4]
	s_waitcnt lgkmcnt(0)
	s_cmp_lg_u64 s[16:17], 0
	s_cselect_b64 s[22:23], -1, 0
	v_lshlrev_b64 v[2:3], 1, v[2:3]
	v_mov_b32_e32 v4, s1
	v_add_co_u32_e32 v10, vcc, s0, v2
	v_addc_co_u32_e32 v11, vcc, v4, v3, vcc
	v_lshlrev_b32_e32 v2, 2, v0
	v_cndmask_b32_e64 v4, 0, 1, s[22:23]
	v_mov_b32_e32 v3, s3
	v_add_co_u32_e32 v2, vcc, s2, v2
	v_cmp_ne_u32_e64 s[0:1], 1, v4
	v_mov_b32_e32 v5, v1
	s_mov_b64 s[20:21], 0
	s_lshl_b64 s[14:15], s[14:15], 7
	v_addc_co_u32_e32 v3, vcc, 0, v3, vcc
	v_mov_b32_e32 v12, v1
	v_mov_b32_e32 v4, v0
	s_branch .LBB5_5
.LBB5_2:                                ;   in Loop: Header=BB5_5 Depth=1
	v_mov_b32_e32 v14, s17
	v_add_co_u32_e32 v13, vcc, s16, v6
	v_addc_co_u32_e32 v14, vcc, v14, v7, vcc
	global_load_ushort v13, v[13:14], off
.LBB5_3:                                ;   in Loop: Header=BB5_5 Depth=1
	v_add_co_u32_e32 v6, vcc, v10, v6
	v_addc_co_u32_e32 v7, vcc, v11, v7, vcc
	global_load_ushort v6, v[6:7], off
	s_waitcnt vmcnt(1)
	v_add_f16_e32 v1, v13, v1
	s_waitcnt vmcnt(0)
	v_fma_f16 v12, -v13, v6, v12
	ds_write_b16 v9, v12
	ds_write_b16 v8, v1
.LBB5_4:                                ;   in Loop: Header=BB5_5 Depth=1
	s_or_b64 exec, exec, s[2:3]
	v_add_co_u32_e32 v4, vcc, 64, v4
	v_addc_co_u32_e32 v5, vcc, 0, v5, vcc
	v_mov_b32_e32 v6, s15
	v_add_co_u32_e32 v10, vcc, s14, v10
	v_addc_co_u32_e32 v11, vcc, v11, v6, vcc
	v_cmp_le_i64_e64 s[2:3], s[12:13], v[4:5]
	v_add_co_u32_e32 v2, vcc, 0x100, v2
	s_or_b64 s[20:21], s[2:3], s[20:21]
	v_addc_co_u32_e32 v3, vcc, 0, v3, vcc
	s_andn2_b64 exec, exec, s[20:21]
	s_cbranch_execz .LBB5_8
.LBB5_5:                                ; =>This Inner Loop Header: Depth=1
	global_load_dword v6, v[2:3], off
	s_waitcnt vmcnt(0)
	v_ashrrev_i32_e32 v7, 31, v6
	v_cmp_ne_u64_e32 vcc, s[18:19], v[6:7]
	s_and_saveexec_b64 s[2:3], vcc
	s_cbranch_execz .LBB5_4
; %bb.6:                                ;   in Loop: Header=BB5_5 Depth=1
	v_lshlrev_b64 v[6:7], 1, v[6:7]
	s_and_b64 vcc, exec, s[0:1]
	s_cbranch_vccz .LBB5_2
; %bb.7:                                ;   in Loop: Header=BB5_5 Depth=1
	v_mov_b32_e32 v13, 0x3c00
	s_branch .LBB5_3
.LBB5_8:
	s_or_b64 exec, exec, s[6:7]
; %bb.9:
	v_cmp_eq_u32_e32 vcc, 0, v0
	s_waitcnt lgkmcnt(0)
	s_barrier
	s_and_saveexec_b64 s[0:1], vcc
	s_cbranch_execz .LBB5_11
; %bb.10:
	v_mov_b32_e32 v10, 0
	ds_read2_b32 v[8:9], v10 offset0:31 offset1:32
	ds_read_b128 v[15:18], v10
	ds_read_b128 v[4:7], v10 offset:16
	ds_read_u16 v14, v10 offset:32
	ds_read_b128 v[0:3], v10 offset:34
	ds_read_b32 v13, v10 offset:50
	ds_read_u16 v12, v10 offset:54
	v_mov_b32_e32 v11, 0xffff
	s_waitcnt lgkmcnt(6)
	v_and_b32_e32 v19, 0xffff, v9
	s_waitcnt lgkmcnt(5)
	v_lshl_or_b32 v19, v15, 16, v19
	v_lshrrev_b32_e32 v15, 16, v15
	v_and_b32_sdwa v9, v11, v9 dst_sel:DWORD dst_unused:UNUSED_PAD src0_sel:DWORD src1_sel:WORD_1
	v_pk_add_f16 v19, v19, 0
	v_lshl_or_b32 v9, v15, 16, v9
	v_pk_add_f16 v9, v19, v9
	ds_read2_b32 v[19:20], v10 offset0:33 offset1:34
	s_load_dword s0, s[4:5], 0x28
	s_waitcnt lgkmcnt(0)
	v_and_b32_e32 v15, 0xffff, v19
	v_lshl_or_b32 v15, v16, 16, v15
	v_pk_add_f16 v9, v9, v15
	v_lshrrev_b32_e32 v15, 16, v16
	v_and_b32_sdwa v16, v11, v19 dst_sel:DWORD dst_unused:UNUSED_PAD src0_sel:DWORD src1_sel:WORD_1
	v_lshl_or_b32 v15, v15, 16, v16
	v_pk_add_f16 v9, v9, v15
	v_and_b32_e32 v15, 0xffff, v20
	v_lshl_or_b32 v15, v17, 16, v15
	v_pk_add_f16 v9, v9, v15
	v_lshrrev_b32_e32 v15, 16, v17
	v_and_b32_sdwa v16, v11, v20 dst_sel:DWORD dst_unused:UNUSED_PAD src0_sel:DWORD src1_sel:WORD_1
	v_lshl_or_b32 v15, v15, 16, v16
	v_pk_add_f16 v9, v9, v15
	ds_read2_b32 v[15:16], v10 offset0:35 offset1:36
	s_bitcmp1_b32 s0, 0
	s_cselect_b64 vcc, -1, 0
	s_waitcnt lgkmcnt(0)
	v_and_b32_e32 v17, 0xffff, v15
	v_lshl_or_b32 v17, v18, 16, v17
	v_pk_add_f16 v9, v9, v17
	v_lshrrev_b32_e32 v17, 16, v18
	v_and_b32_sdwa v15, v11, v15 dst_sel:DWORD dst_unused:UNUSED_PAD src0_sel:DWORD src1_sel:WORD_1
	v_lshl_or_b32 v15, v17, 16, v15
	v_pk_add_f16 v9, v9, v15
	v_and_b32_e32 v15, 0xffff, v16
	v_lshl_or_b32 v15, v4, 16, v15
	v_pk_add_f16 v9, v9, v15
	v_lshrrev_b32_e32 v4, 16, v4
	v_and_b32_sdwa v15, v11, v16 dst_sel:DWORD dst_unused:UNUSED_PAD src0_sel:DWORD src1_sel:WORD_1
	ds_read2_b32 v[17:18], v10 offset0:39 offset1:40
	v_lshl_or_b32 v4, v4, 16, v15
	ds_read2_b32 v[15:16], v10 offset0:37 offset1:38
	v_pk_add_f16 v4, v9, v4
	s_waitcnt lgkmcnt(0)
	v_and_b32_e32 v9, 0xffff, v15
	v_lshl_or_b32 v9, v5, 16, v9
	v_pk_add_f16 v4, v4, v9
	v_lshrrev_b32_e32 v5, 16, v5
	v_and_b32_sdwa v9, v11, v15 dst_sel:DWORD dst_unused:UNUSED_PAD src0_sel:DWORD src1_sel:WORD_1
	v_lshl_or_b32 v5, v5, 16, v9
	v_pk_add_f16 v4, v4, v5
	v_and_b32_e32 v5, 0xffff, v16
	v_lshl_or_b32 v5, v6, 16, v5
	v_pk_add_f16 v4, v4, v5
	v_lshrrev_b32_e32 v5, 16, v6
	v_and_b32_sdwa v6, v11, v16 dst_sel:DWORD dst_unused:UNUSED_PAD src0_sel:DWORD src1_sel:WORD_1
	v_lshl_or_b32 v5, v5, 16, v6
	v_pk_add_f16 v4, v4, v5
	;; [unrolled: 7-line block ×3, first 2 shown]
	v_and_b32_e32 v5, 0xffff, v18
	v_lshl_or_b32 v5, v14, 16, v5
	v_pk_add_f16 v9, v4, v5
	ds_read_b128 v[4:7], v10 offset:162
	s_waitcnt lgkmcnt(0)
	v_and_b32_e32 v14, 0xffff, v4
	v_lshl_or_b32 v14, v0, 16, v14
	v_lshrrev_b32_e32 v0, 16, v0
	v_and_b32_sdwa v4, v11, v4 dst_sel:DWORD dst_unused:UNUSED_PAD src0_sel:DWORD src1_sel:WORD_1
	v_pk_add_f16 v9, v9, v14
	v_lshl_or_b32 v0, v0, 16, v4
	v_and_b32_e32 v4, 0xffff, v5
	v_pk_add_f16 v0, v9, v0
	v_lshl_or_b32 v4, v1, 16, v4
	v_pk_add_f16 v0, v0, v4
	v_lshrrev_b32_e32 v1, 16, v1
	v_and_b32_sdwa v4, v11, v5 dst_sel:DWORD dst_unused:UNUSED_PAD src0_sel:DWORD src1_sel:WORD_1
	v_lshl_or_b32 v1, v1, 16, v4
	v_pk_add_f16 v0, v0, v1
	v_and_b32_e32 v1, 0xffff, v6
	v_lshl_or_b32 v1, v2, 16, v1
	v_pk_add_f16 v0, v0, v1
	v_lshrrev_b32_e32 v1, 16, v2
	v_and_b32_sdwa v2, v11, v6 dst_sel:DWORD dst_unused:UNUSED_PAD src0_sel:DWORD src1_sel:WORD_1
	ds_read_b64 v[14:15], v10 offset:178
	v_lshl_or_b32 v1, v1, 16, v2
	v_pk_add_f16 v0, v0, v1
	v_and_b32_e32 v1, 0xffff, v7
	v_lshl_or_b32 v1, v3, 16, v1
	v_pk_add_f16 v0, v0, v1
	v_lshrrev_b32_e32 v1, 16, v3
	v_and_b32_sdwa v2, v11, v7 dst_sel:DWORD dst_unused:UNUSED_PAD src0_sel:DWORD src1_sel:WORD_1
	v_lshl_or_b32 v1, v1, 16, v2
	v_pk_add_f16 v0, v0, v1
	s_waitcnt lgkmcnt(0)
	v_and_b32_e32 v1, 0xffff, v14
	v_lshl_or_b32 v1, v13, 16, v1
	v_pk_add_f16 v0, v0, v1
	v_lshrrev_b32_e32 v1, 16, v13
	v_and_b32_sdwa v2, v11, v14 dst_sel:DWORD dst_unused:UNUSED_PAD src0_sel:DWORD src1_sel:WORD_1
	v_lshl_or_b32 v1, v1, 16, v2
	v_pk_add_f16 v0, v0, v1
	v_and_b32_e32 v1, 0xffff, v15
	v_lshl_or_b32 v1, v12, 16, v1
	v_pk_add_f16 v9, v0, v1
	ds_read2_b64 v[0:3], v10 offset0:23 offset1:24
	ds_read2_b64 v[4:7], v10 offset0:7 offset1:8
	s_waitcnt lgkmcnt(1)
	v_and_b32_e32 v12, 0xffff, v0
	s_waitcnt lgkmcnt(0)
	v_lshl_or_b32 v12, v4, 16, v12
	v_lshrrev_b32_e32 v4, 16, v4
	v_and_b32_sdwa v0, v11, v0 dst_sel:DWORD dst_unused:UNUSED_PAD src0_sel:DWORD src1_sel:WORD_1
	v_pk_add_f16 v9, v9, v12
	v_lshl_or_b32 v0, v4, 16, v0
	v_pk_add_f16 v0, v9, v0
	v_and_b32_e32 v9, 0xffff, v1
	v_lshl_or_b32 v9, v5, 16, v9
	v_lshrrev_b32_e32 v5, 16, v5
	v_and_b32_sdwa v1, v11, v1 dst_sel:DWORD dst_unused:UNUSED_PAD src0_sel:DWORD src1_sel:WORD_1
	v_pk_add_f16 v0, v0, v9
	v_lshl_or_b32 v1, v5, 16, v1
	v_pk_add_f16 v0, v0, v1
	v_and_b32_e32 v1, 0xffff, v2
	v_lshl_or_b32 v1, v6, 16, v1
	v_pk_add_f16 v0, v0, v1
	v_lshrrev_b32_e32 v1, 16, v6
	v_and_b32_sdwa v2, v11, v2 dst_sel:DWORD dst_unused:UNUSED_PAD src0_sel:DWORD src1_sel:WORD_1
	v_lshl_or_b32 v1, v1, 16, v2
	v_pk_add_f16 v0, v0, v1
	v_and_b32_e32 v1, 0xffff, v3
	v_lshl_or_b32 v1, v7, 16, v1
	v_pk_add_f16 v0, v0, v1
	v_lshrrev_b32_e32 v1, 16, v7
	v_and_b32_sdwa v2, v11, v3 dst_sel:DWORD dst_unused:UNUSED_PAD src0_sel:DWORD src1_sel:WORD_1
	v_lshl_or_b32 v1, v1, 16, v2
	ds_read_b64 v[12:13], v10 offset:200
	ds_read_u16 v4, v10 offset:76
	v_pk_add_f16 v0, v0, v1
	ds_read_b32 v1, v10 offset:72
	s_waitcnt lgkmcnt(2)
	v_and_b32_e32 v2, 0xffff, v12
	s_waitcnt lgkmcnt(0)
	v_lshl_or_b32 v2, v1, 16, v2
	v_pk_add_f16 v0, v0, v2
	v_lshrrev_b32_e32 v1, 16, v1
	v_and_b32_sdwa v2, v11, v12 dst_sel:DWORD dst_unused:UNUSED_PAD src0_sel:DWORD src1_sel:WORD_1
	v_lshl_or_b32 v1, v1, 16, v2
	v_pk_add_f16 v0, v0, v1
	v_and_b32_e32 v1, 0xffff, v13
	v_lshl_or_b32 v1, v4, 16, v1
	ds_read_b128 v[2:5], v10 offset:206
	ds_read_b128 v[12:15], v10 offset:78
	v_pk_add_f16 v0, v0, v1
	s_waitcnt lgkmcnt(1)
	v_and_b32_e32 v1, 0xffff, v2
	s_waitcnt lgkmcnt(0)
	v_lshl_or_b32 v1, v12, 16, v1
	v_pk_add_f16 v0, v0, v1
	v_lshrrev_b32_e32 v1, 16, v12
	v_and_b32_sdwa v2, v11, v2 dst_sel:DWORD dst_unused:UNUSED_PAD src0_sel:DWORD src1_sel:WORD_1
	v_lshl_or_b32 v1, v1, 16, v2
	v_and_b32_e32 v7, 0xffff, v3
	v_pk_add_f16 v6, v0, v1
	v_lshl_or_b32 v7, v13, 16, v7
	v_pk_add_f16 v6, v6, v7
	v_lshrrev_b32_e32 v7, 16, v13
	v_and_b32_sdwa v3, v11, v3 dst_sel:DWORD dst_unused:UNUSED_PAD src0_sel:DWORD src1_sel:WORD_1
	v_lshl_or_b32 v3, v7, 16, v3
	v_pk_add_f16 v3, v6, v3
	v_and_b32_e32 v6, 0xffff, v4
	v_lshl_or_b32 v6, v14, 16, v6
	v_pk_add_f16 v3, v3, v6
	v_lshrrev_b32_e32 v6, 16, v14
	v_and_b32_sdwa v4, v11, v4 dst_sel:DWORD dst_unused:UNUSED_PAD src0_sel:DWORD src1_sel:WORD_1
	v_lshl_or_b32 v4, v6, 16, v4
	v_pk_add_f16 v3, v3, v4
	v_and_b32_e32 v4, 0xffff, v5
	v_lshl_or_b32 v4, v15, 16, v4
	v_pk_add_f16 v3, v3, v4
	v_lshrrev_b32_e32 v4, 16, v15
	v_and_b32_sdwa v5, v11, v5 dst_sel:DWORD dst_unused:UNUSED_PAD src0_sel:DWORD src1_sel:WORD_1
	v_lshl_or_b32 v4, v4, 16, v5
	ds_read_b64 v[0:1], v10 offset:222
	ds_read_u16 v2, v10 offset:98
	v_pk_add_f16 v3, v3, v4
	ds_read_b32 v4, v10 offset:94
	s_waitcnt lgkmcnt(2)
	v_and_b32_e32 v5, 0xffff, v0
	v_and_b32_sdwa v0, v11, v0 dst_sel:DWORD dst_unused:UNUSED_PAD src0_sel:DWORD src1_sel:WORD_1
	v_and_b32_e32 v1, 0xffff, v1
	s_waitcnt lgkmcnt(0)
	v_lshl_or_b32 v5, v4, 16, v5
	v_lshrrev_b32_e32 v4, 16, v4
	v_pk_add_f16 v3, v3, v5
	v_lshl_or_b32 v0, v4, 16, v0
	v_pk_add_f16 v0, v3, v0
	v_lshl_or_b32 v1, v2, 16, v1
	v_pk_add_f16 v4, v0, v1
	ds_read2_b32 v[0:1], v10 offset0:57 offset1:58
	ds_read2_b32 v[2:3], v10 offset0:25 offset1:26
	s_waitcnt lgkmcnt(1)
	v_and_b32_e32 v5, 0xffff, v0
	s_waitcnt lgkmcnt(0)
	v_lshl_or_b32 v5, v2, 16, v5
	v_lshrrev_b32_e32 v2, 16, v2
	v_and_b32_sdwa v0, v11, v0 dst_sel:DWORD dst_unused:UNUSED_PAD src0_sel:DWORD src1_sel:WORD_1
	v_pk_add_f16 v4, v4, v5
	v_lshl_or_b32 v0, v2, 16, v0
	v_and_b32_e32 v2, 0xffff, v1
	v_pk_add_f16 v0, v4, v0
	v_lshl_or_b32 v2, v3, 16, v2
	v_pk_add_f16 v0, v0, v2
	v_lshrrev_b32_e32 v2, 16, v3
	v_and_b32_sdwa v1, v11, v1 dst_sel:DWORD dst_unused:UNUSED_PAD src0_sel:DWORD src1_sel:WORD_1
	v_lshl_or_b32 v1, v2, 16, v1
	v_pk_add_f16 v4, v0, v1
	ds_read2_b32 v[0:1], v10 offset0:59 offset1:60
	ds_read2_b32 v[2:3], v10 offset0:27 offset1:28
	s_waitcnt lgkmcnt(1)
	v_and_b32_e32 v5, 0xffff, v0
	s_waitcnt lgkmcnt(0)
	v_lshl_or_b32 v5, v2, 16, v5
	v_lshrrev_b32_e32 v2, 16, v2
	v_and_b32_sdwa v0, v11, v0 dst_sel:DWORD dst_unused:UNUSED_PAD src0_sel:DWORD src1_sel:WORD_1
	v_pk_add_f16 v4, v4, v5
	v_lshl_or_b32 v0, v2, 16, v0
	v_and_b32_e32 v2, 0xffff, v1
	v_pk_add_f16 v0, v4, v0
	v_lshl_or_b32 v2, v3, 16, v2
	v_pk_add_f16 v0, v0, v2
	v_lshrrev_b32_e32 v2, 16, v3
	v_and_b32_sdwa v1, v11, v1 dst_sel:DWORD dst_unused:UNUSED_PAD src0_sel:DWORD src1_sel:WORD_1
	v_lshl_or_b32 v1, v2, 16, v1
	v_pk_add_f16 v2, v0, v1
	ds_read2_b32 v[0:1], v10 offset0:61 offset1:62
	ds_read2_b32 v[3:4], v10 offset0:29 offset1:30
	s_waitcnt lgkmcnt(1)
	v_and_b32_e32 v5, 0xffff, v0
	s_waitcnt lgkmcnt(0)
	v_lshl_or_b32 v5, v3, 16, v5
	v_lshrrev_b32_e32 v3, 16, v3
	v_and_b32_sdwa v0, v11, v0 dst_sel:DWORD dst_unused:UNUSED_PAD src0_sel:DWORD src1_sel:WORD_1
	v_pk_add_f16 v2, v2, v5
	v_lshl_or_b32 v0, v3, 16, v0
	v_pk_add_f16 v0, v2, v0
	v_and_b32_e32 v2, 0xffff, v1
	v_lshl_or_b32 v2, v4, 16, v2
	v_pk_add_f16 v0, v0, v2
	v_lshrrev_b32_e32 v2, 16, v4
	v_and_b32_sdwa v1, v11, v1 dst_sel:DWORD dst_unused:UNUSED_PAD src0_sel:DWORD src1_sel:WORD_1
	v_lshl_or_b32 v1, v2, 16, v1
	v_pk_add_f16 v0, v0, v1
	ds_read_b32 v1, v10 offset:252
	s_waitcnt lgkmcnt(0)
	v_and_b32_e32 v2, 0xffff, v1
	v_lshl_or_b32 v2, v8, 16, v2
	v_pk_add_f16 v0, v0, v2
	v_lshrrev_b32_e32 v2, 16, v8
	v_and_b32_sdwa v1, v11, v1 dst_sel:DWORD dst_unused:UNUSED_PAD src0_sel:DWORD src1_sel:WORD_1
	v_lshl_or_b32 v1, v2, 16, v1
	v_pk_add_f16 v0, v0, v1
	v_lshrrev_b32_e32 v1, 16, v0
	v_cvt_f32_f16_e32 v3, v1
	v_cvt_f32_f16_e32 v2, v0
	global_store_short v10, v1, s[10:11]
	v_rcp_f32_e32 v4, v3
	v_mul_f32_e32 v5, v2, v4
	v_mad_f32 v6, -v3, v5, v2
	v_mac_f32_e32 v5, v6, v4
	v_mad_f32 v2, -v3, v5, v2
	v_mul_f32_e32 v2, v2, v4
	v_and_b32_e32 v2, 0xff800000, v2
	v_add_f32_e32 v2, v2, v5
	v_cvt_f16_f32_e32 v2, v2
	v_div_fixup_f16 v1, v2, v1, v0
	v_cndmask_b32_e32 v0, v0, v1, vcc
	global_store_short v10, v0, s[8:9]
.LBB5_11:
	s_endpgm
	.section	.rodata,"a",@progbits
	.p2align	6, 0x0
	.amdhsa_kernel _Z32nll_loss_forward_reduce2d_kernelI6__halfS0_iLi64EEvPT_S2_PKS1_PKT1_S4_blll
		.amdhsa_group_segment_fixed_size 256
		.amdhsa_private_segment_fixed_size 0
		.amdhsa_kernarg_size 72
		.amdhsa_user_sgpr_count 6
		.amdhsa_user_sgpr_private_segment_buffer 1
		.amdhsa_user_sgpr_dispatch_ptr 0
		.amdhsa_user_sgpr_queue_ptr 0
		.amdhsa_user_sgpr_kernarg_segment_ptr 1
		.amdhsa_user_sgpr_dispatch_id 0
		.amdhsa_user_sgpr_flat_scratch_init 0
		.amdhsa_user_sgpr_private_segment_size 0
		.amdhsa_uses_dynamic_stack 0
		.amdhsa_system_sgpr_private_segment_wavefront_offset 0
		.amdhsa_system_sgpr_workgroup_id_x 1
		.amdhsa_system_sgpr_workgroup_id_y 0
		.amdhsa_system_sgpr_workgroup_id_z 0
		.amdhsa_system_sgpr_workgroup_info 0
		.amdhsa_system_vgpr_workitem_id 0
		.amdhsa_next_free_vgpr 21
		.amdhsa_next_free_sgpr 24
		.amdhsa_reserve_vcc 1
		.amdhsa_reserve_flat_scratch 0
		.amdhsa_float_round_mode_32 0
		.amdhsa_float_round_mode_16_64 0
		.amdhsa_float_denorm_mode_32 3
		.amdhsa_float_denorm_mode_16_64 3
		.amdhsa_dx10_clamp 1
		.amdhsa_ieee_mode 1
		.amdhsa_fp16_overflow 0
		.amdhsa_exception_fp_ieee_invalid_op 0
		.amdhsa_exception_fp_denorm_src 0
		.amdhsa_exception_fp_ieee_div_zero 0
		.amdhsa_exception_fp_ieee_overflow 0
		.amdhsa_exception_fp_ieee_underflow 0
		.amdhsa_exception_fp_ieee_inexact 0
		.amdhsa_exception_int_div_zero 0
	.end_amdhsa_kernel
	.section	.text._Z32nll_loss_forward_reduce2d_kernelI6__halfS0_iLi64EEvPT_S2_PKS1_PKT1_S4_blll,"axG",@progbits,_Z32nll_loss_forward_reduce2d_kernelI6__halfS0_iLi64EEvPT_S2_PKS1_PKT1_S4_blll,comdat
.Lfunc_end5:
	.size	_Z32nll_loss_forward_reduce2d_kernelI6__halfS0_iLi64EEvPT_S2_PKS1_PKT1_S4_blll, .Lfunc_end5-_Z32nll_loss_forward_reduce2d_kernelI6__halfS0_iLi64EEvPT_S2_PKS1_PKT1_S4_blll
                                        ; -- End function
	.set _Z32nll_loss_forward_reduce2d_kernelI6__halfS0_iLi64EEvPT_S2_PKS1_PKT1_S4_blll.num_vgpr, 21
	.set _Z32nll_loss_forward_reduce2d_kernelI6__halfS0_iLi64EEvPT_S2_PKS1_PKT1_S4_blll.num_agpr, 0
	.set _Z32nll_loss_forward_reduce2d_kernelI6__halfS0_iLi64EEvPT_S2_PKS1_PKT1_S4_blll.numbered_sgpr, 24
	.set _Z32nll_loss_forward_reduce2d_kernelI6__halfS0_iLi64EEvPT_S2_PKS1_PKT1_S4_blll.num_named_barrier, 0
	.set _Z32nll_loss_forward_reduce2d_kernelI6__halfS0_iLi64EEvPT_S2_PKS1_PKT1_S4_blll.private_seg_size, 0
	.set _Z32nll_loss_forward_reduce2d_kernelI6__halfS0_iLi64EEvPT_S2_PKS1_PKT1_S4_blll.uses_vcc, 1
	.set _Z32nll_loss_forward_reduce2d_kernelI6__halfS0_iLi64EEvPT_S2_PKS1_PKT1_S4_blll.uses_flat_scratch, 0
	.set _Z32nll_loss_forward_reduce2d_kernelI6__halfS0_iLi64EEvPT_S2_PKS1_PKT1_S4_blll.has_dyn_sized_stack, 0
	.set _Z32nll_loss_forward_reduce2d_kernelI6__halfS0_iLi64EEvPT_S2_PKS1_PKT1_S4_blll.has_recursion, 0
	.set _Z32nll_loss_forward_reduce2d_kernelI6__halfS0_iLi64EEvPT_S2_PKS1_PKT1_S4_blll.has_indirect_call, 0
	.section	.AMDGPU.csdata,"",@progbits
; Kernel info:
; codeLenInByte = 2504
; TotalNumSgprs: 28
; NumVgprs: 21
; ScratchSize: 0
; MemoryBound: 0
; FloatMode: 240
; IeeeMode: 1
; LDSByteSize: 256 bytes/workgroup (compile time only)
; SGPRBlocks: 3
; VGPRBlocks: 5
; NumSGPRsForWavesPerEU: 28
; NumVGPRsForWavesPerEU: 21
; Occupancy: 10
; WaveLimiterHint : 1
; COMPUTE_PGM_RSRC2:SCRATCH_EN: 0
; COMPUTE_PGM_RSRC2:USER_SGPR: 6
; COMPUTE_PGM_RSRC2:TRAP_HANDLER: 0
; COMPUTE_PGM_RSRC2:TGID_X_EN: 1
; COMPUTE_PGM_RSRC2:TGID_Y_EN: 0
; COMPUTE_PGM_RSRC2:TGID_Z_EN: 0
; COMPUTE_PGM_RSRC2:TIDIG_COMP_CNT: 0
	.section	.text._Z32nll_loss_forward_reduce2d_kernelI6__halfS0_iLi128EEvPT_S2_PKS1_PKT1_S4_blll,"axG",@progbits,_Z32nll_loss_forward_reduce2d_kernelI6__halfS0_iLi128EEvPT_S2_PKS1_PKT1_S4_blll,comdat
	.protected	_Z32nll_loss_forward_reduce2d_kernelI6__halfS0_iLi128EEvPT_S2_PKS1_PKT1_S4_blll ; -- Begin function _Z32nll_loss_forward_reduce2d_kernelI6__halfS0_iLi128EEvPT_S2_PKS1_PKT1_S4_blll
	.globl	_Z32nll_loss_forward_reduce2d_kernelI6__halfS0_iLi128EEvPT_S2_PKS1_PKT1_S4_blll
	.p2align	8
	.type	_Z32nll_loss_forward_reduce2d_kernelI6__halfS0_iLi128EEvPT_S2_PKS1_PKT1_S4_blll,@function
_Z32nll_loss_forward_reduce2d_kernelI6__halfS0_iLi128EEvPT_S2_PKS1_PKT1_S4_blll: ; @_Z32nll_loss_forward_reduce2d_kernelI6__halfS0_iLi128EEvPT_S2_PKS1_PKT1_S4_blll
; %bb.0:
	s_load_dwordx4 s[12:15], s[4:5], 0x30
	s_load_dwordx4 s[8:11], s[4:5], 0x0
	v_mov_b32_e32 v1, 0
	v_lshlrev_b32_e32 v8, 1, v0
	ds_write_b16 v8, v1 offset:256
	s_waitcnt lgkmcnt(0)
	v_cmp_gt_i64_e32 vcc, s[12:13], v[0:1]
	ds_write_b16 v8, v1
	s_and_saveexec_b64 s[6:7], vcc
	s_cbranch_execz .LBB6_8
; %bb.1:
	v_mad_u64_u32 v[2:3], s[0:1], s14, v0, 0
	s_load_dwordx4 s[0:3], s[4:5], 0x10
	s_load_dwordx2 s[16:17], s[4:5], 0x20
	s_load_dwordx2 s[18:19], s[4:5], 0x40
	v_add_u32_e32 v9, 0x100, v8
	v_mad_u64_u32 v[3:4], s[20:21], s15, v0, v[3:4]
	s_waitcnt lgkmcnt(0)
	s_cmp_lg_u64 s[16:17], 0
	s_cselect_b64 s[22:23], -1, 0
	v_lshlrev_b64 v[2:3], 1, v[2:3]
	v_mov_b32_e32 v4, s1
	v_add_co_u32_e32 v10, vcc, s0, v2
	v_addc_co_u32_e32 v11, vcc, v4, v3, vcc
	v_lshlrev_b32_e32 v2, 2, v0
	v_cndmask_b32_e64 v4, 0, 1, s[22:23]
	v_mov_b32_e32 v3, s3
	v_add_co_u32_e32 v2, vcc, s2, v2
	v_cmp_ne_u32_e64 s[0:1], 1, v4
	v_mov_b32_e32 v5, v1
	s_mov_b64 s[20:21], 0
	s_lshl_b64 s[14:15], s[14:15], 8
	v_addc_co_u32_e32 v3, vcc, 0, v3, vcc
	v_mov_b32_e32 v12, v1
	v_mov_b32_e32 v4, v0
	s_branch .LBB6_5
.LBB6_2:                                ;   in Loop: Header=BB6_5 Depth=1
	v_mov_b32_e32 v14, s17
	v_add_co_u32_e32 v13, vcc, s16, v6
	v_addc_co_u32_e32 v14, vcc, v14, v7, vcc
	global_load_ushort v13, v[13:14], off
.LBB6_3:                                ;   in Loop: Header=BB6_5 Depth=1
	v_add_co_u32_e32 v6, vcc, v10, v6
	v_addc_co_u32_e32 v7, vcc, v11, v7, vcc
	global_load_ushort v6, v[6:7], off
	s_waitcnt vmcnt(1)
	v_add_f16_e32 v1, v13, v1
	s_waitcnt vmcnt(0)
	v_fma_f16 v12, -v13, v6, v12
	ds_write_b16 v9, v12
	ds_write_b16 v8, v1
.LBB6_4:                                ;   in Loop: Header=BB6_5 Depth=1
	s_or_b64 exec, exec, s[2:3]
	v_add_co_u32_e32 v4, vcc, 0x80, v4
	v_addc_co_u32_e32 v5, vcc, 0, v5, vcc
	v_mov_b32_e32 v6, s15
	v_add_co_u32_e32 v10, vcc, s14, v10
	v_addc_co_u32_e32 v11, vcc, v11, v6, vcc
	v_cmp_le_i64_e64 s[2:3], s[12:13], v[4:5]
	v_add_co_u32_e32 v2, vcc, 0x200, v2
	s_or_b64 s[20:21], s[2:3], s[20:21]
	v_addc_co_u32_e32 v3, vcc, 0, v3, vcc
	s_andn2_b64 exec, exec, s[20:21]
	s_cbranch_execz .LBB6_8
.LBB6_5:                                ; =>This Inner Loop Header: Depth=1
	global_load_dword v6, v[2:3], off
	s_waitcnt vmcnt(0)
	v_ashrrev_i32_e32 v7, 31, v6
	v_cmp_ne_u64_e32 vcc, s[18:19], v[6:7]
	s_and_saveexec_b64 s[2:3], vcc
	s_cbranch_execz .LBB6_4
; %bb.6:                                ;   in Loop: Header=BB6_5 Depth=1
	v_lshlrev_b64 v[6:7], 1, v[6:7]
	s_and_b64 vcc, exec, s[0:1]
	s_cbranch_vccz .LBB6_2
; %bb.7:                                ;   in Loop: Header=BB6_5 Depth=1
	v_mov_b32_e32 v13, 0x3c00
	s_branch .LBB6_3
.LBB6_8:
	s_or_b64 exec, exec, s[6:7]
; %bb.9:
	s_mov_b32 s0, 0
	v_cmp_eq_u32_e32 vcc, 0, v0
	s_waitcnt lgkmcnt(0)
	s_barrier
	s_and_saveexec_b64 s[2:3], vcc
	s_cbranch_execz .LBB6_13
; %bb.10:
	v_mov_b32_e32 v1, 0
	v_mov_b32_e32 v0, 0
.LBB6_11:                               ; =>This Inner Loop Header: Depth=1
	v_mov_b32_e32 v14, s0
	ds_read_b128 v[2:5], v14 offset:256
	ds_read_b128 v[6:9], v14
	ds_read_b128 v[10:13], v14 offset:16
	ds_read_b128 v[14:17], v14 offset:272
	s_add_i32 s0, s0, 32
	s_waitcnt lgkmcnt(3)
	v_add_f16_e32 v0, v0, v2
	s_waitcnt lgkmcnt(2)
	v_add_f16_e32 v1, v1, v6
	v_add_f16_sdwa v0, v0, v2 dst_sel:DWORD dst_unused:UNUSED_PAD src0_sel:DWORD src1_sel:WORD_1
	v_add_f16_sdwa v1, v1, v6 dst_sel:DWORD dst_unused:UNUSED_PAD src0_sel:DWORD src1_sel:WORD_1
	v_add_f16_e32 v0, v0, v3
	v_add_f16_e32 v1, v1, v7
	v_add_f16_sdwa v0, v0, v3 dst_sel:DWORD dst_unused:UNUSED_PAD src0_sel:DWORD src1_sel:WORD_1
	v_add_f16_sdwa v1, v1, v7 dst_sel:DWORD dst_unused:UNUSED_PAD src0_sel:DWORD src1_sel:WORD_1
	v_add_f16_e32 v0, v0, v4
	;; [unrolled: 4-line block ×3, first 2 shown]
	v_add_f16_e32 v1, v1, v9
	v_add_f16_sdwa v0, v0, v5 dst_sel:DWORD dst_unused:UNUSED_PAD src0_sel:DWORD src1_sel:WORD_1
	v_add_f16_sdwa v1, v1, v9 dst_sel:DWORD dst_unused:UNUSED_PAD src0_sel:DWORD src1_sel:WORD_1
	s_waitcnt lgkmcnt(0)
	v_add_f16_e32 v0, v0, v14
	v_add_f16_e32 v1, v1, v10
	v_add_f16_sdwa v0, v0, v14 dst_sel:DWORD dst_unused:UNUSED_PAD src0_sel:DWORD src1_sel:WORD_1
	v_add_f16_sdwa v1, v1, v10 dst_sel:DWORD dst_unused:UNUSED_PAD src0_sel:DWORD src1_sel:WORD_1
	v_add_f16_e32 v0, v0, v15
	v_add_f16_e32 v1, v1, v11
	v_add_f16_sdwa v0, v0, v15 dst_sel:DWORD dst_unused:UNUSED_PAD src0_sel:DWORD src1_sel:WORD_1
	v_add_f16_sdwa v1, v1, v11 dst_sel:DWORD dst_unused:UNUSED_PAD src0_sel:DWORD src1_sel:WORD_1
	;; [unrolled: 4-line block ×3, first 2 shown]
	v_add_f16_e32 v0, v0, v17
	v_add_f16_e32 v1, v1, v13
	s_cmpk_eq_i32 s0, 0x100
	v_add_f16_sdwa v0, v0, v17 dst_sel:DWORD dst_unused:UNUSED_PAD src0_sel:DWORD src1_sel:WORD_1
	v_add_f16_sdwa v1, v1, v13 dst_sel:DWORD dst_unused:UNUSED_PAD src0_sel:DWORD src1_sel:WORD_1
	s_cbranch_scc0 .LBB6_11
; %bb.12:
	v_cvt_f32_f16_e32 v2, v1
	v_cvt_f32_f16_e32 v3, v0
	s_load_dword s0, s[4:5], 0x28
	v_rcp_f32_e32 v4, v2
	s_waitcnt lgkmcnt(0)
	s_bitcmp1_b32 s0, 0
	v_mul_f32_e32 v5, v3, v4
	v_mad_f32 v6, -v2, v5, v3
	v_mac_f32_e32 v5, v6, v4
	v_mad_f32 v2, -v2, v5, v3
	v_mul_f32_e32 v2, v2, v4
	v_and_b32_e32 v2, 0xff800000, v2
	v_add_f32_e32 v2, v2, v5
	v_cvt_f16_f32_e32 v2, v2
	v_mov_b32_e32 v3, 0
	global_store_short v3, v1, s[10:11]
	s_cselect_b64 vcc, -1, 0
	v_div_fixup_f16 v1, v2, v1, v0
	v_cndmask_b32_e32 v0, v0, v1, vcc
	global_store_short v3, v0, s[8:9]
.LBB6_13:
	s_endpgm
	.section	.rodata,"a",@progbits
	.p2align	6, 0x0
	.amdhsa_kernel _Z32nll_loss_forward_reduce2d_kernelI6__halfS0_iLi128EEvPT_S2_PKS1_PKT1_S4_blll
		.amdhsa_group_segment_fixed_size 512
		.amdhsa_private_segment_fixed_size 0
		.amdhsa_kernarg_size 72
		.amdhsa_user_sgpr_count 6
		.amdhsa_user_sgpr_private_segment_buffer 1
		.amdhsa_user_sgpr_dispatch_ptr 0
		.amdhsa_user_sgpr_queue_ptr 0
		.amdhsa_user_sgpr_kernarg_segment_ptr 1
		.amdhsa_user_sgpr_dispatch_id 0
		.amdhsa_user_sgpr_flat_scratch_init 0
		.amdhsa_user_sgpr_private_segment_size 0
		.amdhsa_uses_dynamic_stack 0
		.amdhsa_system_sgpr_private_segment_wavefront_offset 0
		.amdhsa_system_sgpr_workgroup_id_x 1
		.amdhsa_system_sgpr_workgroup_id_y 0
		.amdhsa_system_sgpr_workgroup_id_z 0
		.amdhsa_system_sgpr_workgroup_info 0
		.amdhsa_system_vgpr_workitem_id 0
		.amdhsa_next_free_vgpr 18
		.amdhsa_next_free_sgpr 24
		.amdhsa_reserve_vcc 1
		.amdhsa_reserve_flat_scratch 0
		.amdhsa_float_round_mode_32 0
		.amdhsa_float_round_mode_16_64 0
		.amdhsa_float_denorm_mode_32 3
		.amdhsa_float_denorm_mode_16_64 3
		.amdhsa_dx10_clamp 1
		.amdhsa_ieee_mode 1
		.amdhsa_fp16_overflow 0
		.amdhsa_exception_fp_ieee_invalid_op 0
		.amdhsa_exception_fp_denorm_src 0
		.amdhsa_exception_fp_ieee_div_zero 0
		.amdhsa_exception_fp_ieee_overflow 0
		.amdhsa_exception_fp_ieee_underflow 0
		.amdhsa_exception_fp_ieee_inexact 0
		.amdhsa_exception_int_div_zero 0
	.end_amdhsa_kernel
	.section	.text._Z32nll_loss_forward_reduce2d_kernelI6__halfS0_iLi128EEvPT_S2_PKS1_PKT1_S4_blll,"axG",@progbits,_Z32nll_loss_forward_reduce2d_kernelI6__halfS0_iLi128EEvPT_S2_PKS1_PKT1_S4_blll,comdat
.Lfunc_end6:
	.size	_Z32nll_loss_forward_reduce2d_kernelI6__halfS0_iLi128EEvPT_S2_PKS1_PKT1_S4_blll, .Lfunc_end6-_Z32nll_loss_forward_reduce2d_kernelI6__halfS0_iLi128EEvPT_S2_PKS1_PKT1_S4_blll
                                        ; -- End function
	.set _Z32nll_loss_forward_reduce2d_kernelI6__halfS0_iLi128EEvPT_S2_PKS1_PKT1_S4_blll.num_vgpr, 18
	.set _Z32nll_loss_forward_reduce2d_kernelI6__halfS0_iLi128EEvPT_S2_PKS1_PKT1_S4_blll.num_agpr, 0
	.set _Z32nll_loss_forward_reduce2d_kernelI6__halfS0_iLi128EEvPT_S2_PKS1_PKT1_S4_blll.numbered_sgpr, 24
	.set _Z32nll_loss_forward_reduce2d_kernelI6__halfS0_iLi128EEvPT_S2_PKS1_PKT1_S4_blll.num_named_barrier, 0
	.set _Z32nll_loss_forward_reduce2d_kernelI6__halfS0_iLi128EEvPT_S2_PKS1_PKT1_S4_blll.private_seg_size, 0
	.set _Z32nll_loss_forward_reduce2d_kernelI6__halfS0_iLi128EEvPT_S2_PKS1_PKT1_S4_blll.uses_vcc, 1
	.set _Z32nll_loss_forward_reduce2d_kernelI6__halfS0_iLi128EEvPT_S2_PKS1_PKT1_S4_blll.uses_flat_scratch, 0
	.set _Z32nll_loss_forward_reduce2d_kernelI6__halfS0_iLi128EEvPT_S2_PKS1_PKT1_S4_blll.has_dyn_sized_stack, 0
	.set _Z32nll_loss_forward_reduce2d_kernelI6__halfS0_iLi128EEvPT_S2_PKS1_PKT1_S4_blll.has_recursion, 0
	.set _Z32nll_loss_forward_reduce2d_kernelI6__halfS0_iLi128EEvPT_S2_PKS1_PKT1_S4_blll.has_indirect_call, 0
	.section	.AMDGPU.csdata,"",@progbits
; Kernel info:
; codeLenInByte = 780
; TotalNumSgprs: 28
; NumVgprs: 18
; ScratchSize: 0
; MemoryBound: 0
; FloatMode: 240
; IeeeMode: 1
; LDSByteSize: 512 bytes/workgroup (compile time only)
; SGPRBlocks: 3
; VGPRBlocks: 4
; NumSGPRsForWavesPerEU: 28
; NumVGPRsForWavesPerEU: 18
; Occupancy: 10
; WaveLimiterHint : 1
; COMPUTE_PGM_RSRC2:SCRATCH_EN: 0
; COMPUTE_PGM_RSRC2:USER_SGPR: 6
; COMPUTE_PGM_RSRC2:TRAP_HANDLER: 0
; COMPUTE_PGM_RSRC2:TGID_X_EN: 1
; COMPUTE_PGM_RSRC2:TGID_Y_EN: 0
; COMPUTE_PGM_RSRC2:TGID_Z_EN: 0
; COMPUTE_PGM_RSRC2:TIDIG_COMP_CNT: 0
	.section	.text._Z32nll_loss_forward_reduce2d_kernelI6__halfS0_iLi256EEvPT_S2_PKS1_PKT1_S4_blll,"axG",@progbits,_Z32nll_loss_forward_reduce2d_kernelI6__halfS0_iLi256EEvPT_S2_PKS1_PKT1_S4_blll,comdat
	.protected	_Z32nll_loss_forward_reduce2d_kernelI6__halfS0_iLi256EEvPT_S2_PKS1_PKT1_S4_blll ; -- Begin function _Z32nll_loss_forward_reduce2d_kernelI6__halfS0_iLi256EEvPT_S2_PKS1_PKT1_S4_blll
	.globl	_Z32nll_loss_forward_reduce2d_kernelI6__halfS0_iLi256EEvPT_S2_PKS1_PKT1_S4_blll
	.p2align	8
	.type	_Z32nll_loss_forward_reduce2d_kernelI6__halfS0_iLi256EEvPT_S2_PKS1_PKT1_S4_blll,@function
_Z32nll_loss_forward_reduce2d_kernelI6__halfS0_iLi256EEvPT_S2_PKS1_PKT1_S4_blll: ; @_Z32nll_loss_forward_reduce2d_kernelI6__halfS0_iLi256EEvPT_S2_PKS1_PKT1_S4_blll
; %bb.0:
	s_load_dwordx4 s[12:15], s[4:5], 0x30
	s_load_dwordx4 s[8:11], s[4:5], 0x0
	v_mov_b32_e32 v1, 0
	v_lshlrev_b32_e32 v8, 1, v0
	ds_write_b16 v8, v1 offset:512
	s_waitcnt lgkmcnt(0)
	v_cmp_gt_i64_e32 vcc, s[12:13], v[0:1]
	ds_write_b16 v8, v1
	s_and_saveexec_b64 s[6:7], vcc
	s_cbranch_execz .LBB7_8
; %bb.1:
	v_mad_u64_u32 v[2:3], s[0:1], s14, v0, 0
	s_load_dwordx4 s[0:3], s[4:5], 0x10
	s_load_dwordx2 s[16:17], s[4:5], 0x20
	s_load_dwordx2 s[18:19], s[4:5], 0x40
	v_add_u32_e32 v9, 0x200, v8
	v_mad_u64_u32 v[3:4], s[20:21], s15, v0, v[3:4]
	s_waitcnt lgkmcnt(0)
	s_cmp_lg_u64 s[16:17], 0
	s_cselect_b64 s[22:23], -1, 0
	v_lshlrev_b64 v[2:3], 1, v[2:3]
	v_mov_b32_e32 v4, s1
	v_add_co_u32_e32 v10, vcc, s0, v2
	v_addc_co_u32_e32 v11, vcc, v4, v3, vcc
	v_lshlrev_b32_e32 v2, 2, v0
	v_cndmask_b32_e64 v4, 0, 1, s[22:23]
	v_mov_b32_e32 v3, s3
	v_add_co_u32_e32 v2, vcc, s2, v2
	v_cmp_ne_u32_e64 s[0:1], 1, v4
	v_mov_b32_e32 v5, v1
	s_mov_b64 s[20:21], 0
	s_lshl_b64 s[14:15], s[14:15], 9
	v_addc_co_u32_e32 v3, vcc, 0, v3, vcc
	v_mov_b32_e32 v12, v1
	v_mov_b32_e32 v4, v0
	s_branch .LBB7_5
.LBB7_2:                                ;   in Loop: Header=BB7_5 Depth=1
	v_mov_b32_e32 v14, s17
	v_add_co_u32_e32 v13, vcc, s16, v6
	v_addc_co_u32_e32 v14, vcc, v14, v7, vcc
	global_load_ushort v13, v[13:14], off
.LBB7_3:                                ;   in Loop: Header=BB7_5 Depth=1
	v_add_co_u32_e32 v6, vcc, v10, v6
	v_addc_co_u32_e32 v7, vcc, v11, v7, vcc
	global_load_ushort v6, v[6:7], off
	s_waitcnt vmcnt(1)
	v_add_f16_e32 v1, v13, v1
	s_waitcnt vmcnt(0)
	v_fma_f16 v12, -v13, v6, v12
	ds_write_b16 v9, v12
	ds_write_b16 v8, v1
.LBB7_4:                                ;   in Loop: Header=BB7_5 Depth=1
	s_or_b64 exec, exec, s[2:3]
	v_add_co_u32_e32 v4, vcc, 0x100, v4
	v_addc_co_u32_e32 v5, vcc, 0, v5, vcc
	v_mov_b32_e32 v6, s15
	v_add_co_u32_e32 v10, vcc, s14, v10
	v_addc_co_u32_e32 v11, vcc, v11, v6, vcc
	v_cmp_le_i64_e64 s[2:3], s[12:13], v[4:5]
	v_add_co_u32_e32 v2, vcc, 0x400, v2
	s_or_b64 s[20:21], s[2:3], s[20:21]
	v_addc_co_u32_e32 v3, vcc, 0, v3, vcc
	s_andn2_b64 exec, exec, s[20:21]
	s_cbranch_execz .LBB7_8
.LBB7_5:                                ; =>This Inner Loop Header: Depth=1
	global_load_dword v6, v[2:3], off
	s_waitcnt vmcnt(0)
	v_ashrrev_i32_e32 v7, 31, v6
	v_cmp_ne_u64_e32 vcc, s[18:19], v[6:7]
	s_and_saveexec_b64 s[2:3], vcc
	s_cbranch_execz .LBB7_4
; %bb.6:                                ;   in Loop: Header=BB7_5 Depth=1
	v_lshlrev_b64 v[6:7], 1, v[6:7]
	s_and_b64 vcc, exec, s[0:1]
	s_cbranch_vccz .LBB7_2
; %bb.7:                                ;   in Loop: Header=BB7_5 Depth=1
	v_mov_b32_e32 v13, 0x3c00
	s_branch .LBB7_3
.LBB7_8:
	s_or_b64 exec, exec, s[6:7]
; %bb.9:
	s_mov_b32 s0, 0
	v_cmp_eq_u32_e32 vcc, 0, v0
	s_waitcnt lgkmcnt(0)
	s_barrier
	s_and_saveexec_b64 s[2:3], vcc
	s_cbranch_execz .LBB7_13
; %bb.10:
	v_mov_b32_e32 v1, 0
	v_mov_b32_e32 v0, 0
.LBB7_11:                               ; =>This Inner Loop Header: Depth=1
	v_mov_b32_e32 v14, s0
	ds_read_b128 v[2:5], v14 offset:512
	ds_read_b128 v[6:9], v14
	ds_read_b128 v[10:13], v14 offset:16
	ds_read_b128 v[14:17], v14 offset:528
	s_add_i32 s0, s0, 32
	s_waitcnt lgkmcnt(3)
	v_add_f16_e32 v0, v0, v2
	s_waitcnt lgkmcnt(2)
	v_add_f16_e32 v1, v1, v6
	v_add_f16_sdwa v0, v0, v2 dst_sel:DWORD dst_unused:UNUSED_PAD src0_sel:DWORD src1_sel:WORD_1
	v_add_f16_sdwa v1, v1, v6 dst_sel:DWORD dst_unused:UNUSED_PAD src0_sel:DWORD src1_sel:WORD_1
	v_add_f16_e32 v0, v0, v3
	v_add_f16_e32 v1, v1, v7
	v_add_f16_sdwa v0, v0, v3 dst_sel:DWORD dst_unused:UNUSED_PAD src0_sel:DWORD src1_sel:WORD_1
	v_add_f16_sdwa v1, v1, v7 dst_sel:DWORD dst_unused:UNUSED_PAD src0_sel:DWORD src1_sel:WORD_1
	v_add_f16_e32 v0, v0, v4
	;; [unrolled: 4-line block ×3, first 2 shown]
	v_add_f16_e32 v1, v1, v9
	v_add_f16_sdwa v0, v0, v5 dst_sel:DWORD dst_unused:UNUSED_PAD src0_sel:DWORD src1_sel:WORD_1
	v_add_f16_sdwa v1, v1, v9 dst_sel:DWORD dst_unused:UNUSED_PAD src0_sel:DWORD src1_sel:WORD_1
	s_waitcnt lgkmcnt(0)
	v_add_f16_e32 v0, v0, v14
	v_add_f16_e32 v1, v1, v10
	v_add_f16_sdwa v0, v0, v14 dst_sel:DWORD dst_unused:UNUSED_PAD src0_sel:DWORD src1_sel:WORD_1
	v_add_f16_sdwa v1, v1, v10 dst_sel:DWORD dst_unused:UNUSED_PAD src0_sel:DWORD src1_sel:WORD_1
	v_add_f16_e32 v0, v0, v15
	v_add_f16_e32 v1, v1, v11
	v_add_f16_sdwa v0, v0, v15 dst_sel:DWORD dst_unused:UNUSED_PAD src0_sel:DWORD src1_sel:WORD_1
	v_add_f16_sdwa v1, v1, v11 dst_sel:DWORD dst_unused:UNUSED_PAD src0_sel:DWORD src1_sel:WORD_1
	;; [unrolled: 4-line block ×3, first 2 shown]
	v_add_f16_e32 v0, v0, v17
	v_add_f16_e32 v1, v1, v13
	s_cmpk_eq_i32 s0, 0x200
	v_add_f16_sdwa v0, v0, v17 dst_sel:DWORD dst_unused:UNUSED_PAD src0_sel:DWORD src1_sel:WORD_1
	v_add_f16_sdwa v1, v1, v13 dst_sel:DWORD dst_unused:UNUSED_PAD src0_sel:DWORD src1_sel:WORD_1
	s_cbranch_scc0 .LBB7_11
; %bb.12:
	v_cvt_f32_f16_e32 v2, v1
	v_cvt_f32_f16_e32 v3, v0
	s_load_dword s0, s[4:5], 0x28
	v_rcp_f32_e32 v4, v2
	s_waitcnt lgkmcnt(0)
	s_bitcmp1_b32 s0, 0
	v_mul_f32_e32 v5, v3, v4
	v_mad_f32 v6, -v2, v5, v3
	v_mac_f32_e32 v5, v6, v4
	v_mad_f32 v2, -v2, v5, v3
	v_mul_f32_e32 v2, v2, v4
	v_and_b32_e32 v2, 0xff800000, v2
	v_add_f32_e32 v2, v2, v5
	v_cvt_f16_f32_e32 v2, v2
	v_mov_b32_e32 v3, 0
	global_store_short v3, v1, s[10:11]
	s_cselect_b64 vcc, -1, 0
	v_div_fixup_f16 v1, v2, v1, v0
	v_cndmask_b32_e32 v0, v0, v1, vcc
	global_store_short v3, v0, s[8:9]
.LBB7_13:
	s_endpgm
	.section	.rodata,"a",@progbits
	.p2align	6, 0x0
	.amdhsa_kernel _Z32nll_loss_forward_reduce2d_kernelI6__halfS0_iLi256EEvPT_S2_PKS1_PKT1_S4_blll
		.amdhsa_group_segment_fixed_size 1024
		.amdhsa_private_segment_fixed_size 0
		.amdhsa_kernarg_size 72
		.amdhsa_user_sgpr_count 6
		.amdhsa_user_sgpr_private_segment_buffer 1
		.amdhsa_user_sgpr_dispatch_ptr 0
		.amdhsa_user_sgpr_queue_ptr 0
		.amdhsa_user_sgpr_kernarg_segment_ptr 1
		.amdhsa_user_sgpr_dispatch_id 0
		.amdhsa_user_sgpr_flat_scratch_init 0
		.amdhsa_user_sgpr_private_segment_size 0
		.amdhsa_uses_dynamic_stack 0
		.amdhsa_system_sgpr_private_segment_wavefront_offset 0
		.amdhsa_system_sgpr_workgroup_id_x 1
		.amdhsa_system_sgpr_workgroup_id_y 0
		.amdhsa_system_sgpr_workgroup_id_z 0
		.amdhsa_system_sgpr_workgroup_info 0
		.amdhsa_system_vgpr_workitem_id 0
		.amdhsa_next_free_vgpr 18
		.amdhsa_next_free_sgpr 24
		.amdhsa_reserve_vcc 1
		.amdhsa_reserve_flat_scratch 0
		.amdhsa_float_round_mode_32 0
		.amdhsa_float_round_mode_16_64 0
		.amdhsa_float_denorm_mode_32 3
		.amdhsa_float_denorm_mode_16_64 3
		.amdhsa_dx10_clamp 1
		.amdhsa_ieee_mode 1
		.amdhsa_fp16_overflow 0
		.amdhsa_exception_fp_ieee_invalid_op 0
		.amdhsa_exception_fp_denorm_src 0
		.amdhsa_exception_fp_ieee_div_zero 0
		.amdhsa_exception_fp_ieee_overflow 0
		.amdhsa_exception_fp_ieee_underflow 0
		.amdhsa_exception_fp_ieee_inexact 0
		.amdhsa_exception_int_div_zero 0
	.end_amdhsa_kernel
	.section	.text._Z32nll_loss_forward_reduce2d_kernelI6__halfS0_iLi256EEvPT_S2_PKS1_PKT1_S4_blll,"axG",@progbits,_Z32nll_loss_forward_reduce2d_kernelI6__halfS0_iLi256EEvPT_S2_PKS1_PKT1_S4_blll,comdat
.Lfunc_end7:
	.size	_Z32nll_loss_forward_reduce2d_kernelI6__halfS0_iLi256EEvPT_S2_PKS1_PKT1_S4_blll, .Lfunc_end7-_Z32nll_loss_forward_reduce2d_kernelI6__halfS0_iLi256EEvPT_S2_PKS1_PKT1_S4_blll
                                        ; -- End function
	.set _Z32nll_loss_forward_reduce2d_kernelI6__halfS0_iLi256EEvPT_S2_PKS1_PKT1_S4_blll.num_vgpr, 18
	.set _Z32nll_loss_forward_reduce2d_kernelI6__halfS0_iLi256EEvPT_S2_PKS1_PKT1_S4_blll.num_agpr, 0
	.set _Z32nll_loss_forward_reduce2d_kernelI6__halfS0_iLi256EEvPT_S2_PKS1_PKT1_S4_blll.numbered_sgpr, 24
	.set _Z32nll_loss_forward_reduce2d_kernelI6__halfS0_iLi256EEvPT_S2_PKS1_PKT1_S4_blll.num_named_barrier, 0
	.set _Z32nll_loss_forward_reduce2d_kernelI6__halfS0_iLi256EEvPT_S2_PKS1_PKT1_S4_blll.private_seg_size, 0
	.set _Z32nll_loss_forward_reduce2d_kernelI6__halfS0_iLi256EEvPT_S2_PKS1_PKT1_S4_blll.uses_vcc, 1
	.set _Z32nll_loss_forward_reduce2d_kernelI6__halfS0_iLi256EEvPT_S2_PKS1_PKT1_S4_blll.uses_flat_scratch, 0
	.set _Z32nll_loss_forward_reduce2d_kernelI6__halfS0_iLi256EEvPT_S2_PKS1_PKT1_S4_blll.has_dyn_sized_stack, 0
	.set _Z32nll_loss_forward_reduce2d_kernelI6__halfS0_iLi256EEvPT_S2_PKS1_PKT1_S4_blll.has_recursion, 0
	.set _Z32nll_loss_forward_reduce2d_kernelI6__halfS0_iLi256EEvPT_S2_PKS1_PKT1_S4_blll.has_indirect_call, 0
	.section	.AMDGPU.csdata,"",@progbits
; Kernel info:
; codeLenInByte = 780
; TotalNumSgprs: 28
; NumVgprs: 18
; ScratchSize: 0
; MemoryBound: 0
; FloatMode: 240
; IeeeMode: 1
; LDSByteSize: 1024 bytes/workgroup (compile time only)
; SGPRBlocks: 3
; VGPRBlocks: 4
; NumSGPRsForWavesPerEU: 28
; NumVGPRsForWavesPerEU: 18
; Occupancy: 10
; WaveLimiterHint : 1
; COMPUTE_PGM_RSRC2:SCRATCH_EN: 0
; COMPUTE_PGM_RSRC2:USER_SGPR: 6
; COMPUTE_PGM_RSRC2:TRAP_HANDLER: 0
; COMPUTE_PGM_RSRC2:TGID_X_EN: 1
; COMPUTE_PGM_RSRC2:TGID_Y_EN: 0
; COMPUTE_PGM_RSRC2:TGID_Z_EN: 0
; COMPUTE_PGM_RSRC2:TIDIG_COMP_CNT: 0
	.section	.text._Z32nll_loss_forward_reduce2d_kernelI6__halfS0_iLi512EEvPT_S2_PKS1_PKT1_S4_blll,"axG",@progbits,_Z32nll_loss_forward_reduce2d_kernelI6__halfS0_iLi512EEvPT_S2_PKS1_PKT1_S4_blll,comdat
	.protected	_Z32nll_loss_forward_reduce2d_kernelI6__halfS0_iLi512EEvPT_S2_PKS1_PKT1_S4_blll ; -- Begin function _Z32nll_loss_forward_reduce2d_kernelI6__halfS0_iLi512EEvPT_S2_PKS1_PKT1_S4_blll
	.globl	_Z32nll_loss_forward_reduce2d_kernelI6__halfS0_iLi512EEvPT_S2_PKS1_PKT1_S4_blll
	.p2align	8
	.type	_Z32nll_loss_forward_reduce2d_kernelI6__halfS0_iLi512EEvPT_S2_PKS1_PKT1_S4_blll,@function
_Z32nll_loss_forward_reduce2d_kernelI6__halfS0_iLi512EEvPT_S2_PKS1_PKT1_S4_blll: ; @_Z32nll_loss_forward_reduce2d_kernelI6__halfS0_iLi512EEvPT_S2_PKS1_PKT1_S4_blll
; %bb.0:
	s_load_dwordx4 s[12:15], s[4:5], 0x30
	s_load_dwordx4 s[8:11], s[4:5], 0x0
	v_mov_b32_e32 v1, 0
	v_lshlrev_b32_e32 v8, 1, v0
	ds_write_b16 v8, v1 offset:1024
	s_waitcnt lgkmcnt(0)
	v_cmp_gt_i64_e32 vcc, s[12:13], v[0:1]
	ds_write_b16 v8, v1
	s_and_saveexec_b64 s[2:3], vcc
	s_cbranch_execz .LBB8_8
; %bb.1:
	v_mad_u64_u32 v[2:3], s[0:1], s14, v0, 0
	s_load_dwordx4 s[24:27], s[4:5], 0x10
	s_load_dwordx2 s[6:7], s[4:5], 0x20
	s_load_dwordx2 s[16:17], s[4:5], 0x40
	v_add_u32_e32 v9, 0x400, v8
	v_mad_u64_u32 v[3:4], s[0:1], s15, v0, v[3:4]
	s_waitcnt lgkmcnt(0)
	v_mov_b32_e32 v4, s25
	s_cmp_lg_u64 s[6:7], 0
	v_lshlrev_b64 v[2:3], 1, v[2:3]
	s_mov_b64 s[18:19], 0
	v_add_co_u32_e32 v10, vcc, s24, v2
	v_addc_co_u32_e32 v11, vcc, v4, v3, vcc
	v_lshlrev_b32_e32 v2, 2, v0
	v_mov_b32_e32 v3, s27
	v_add_co_u32_e32 v2, vcc, s26, v2
	v_mov_b32_e32 v5, v1
	s_cselect_b64 s[20:21], -1, 0
	s_lshl_b64 s[14:15], s[14:15], 10
	v_addc_co_u32_e32 v3, vcc, 0, v3, vcc
	v_mov_b32_e32 v12, v1
	v_mov_b32_e32 v4, v0
	s_branch .LBB8_5
.LBB8_2:                                ;   in Loop: Header=BB8_5 Depth=1
	v_mov_b32_e32 v14, s7
	v_add_co_u32_e32 v13, vcc, s6, v6
	v_addc_co_u32_e32 v14, vcc, v14, v7, vcc
	global_load_ushort v13, v[13:14], off
.LBB8_3:                                ;   in Loop: Header=BB8_5 Depth=1
	v_add_co_u32_e32 v6, vcc, v10, v6
	v_addc_co_u32_e32 v7, vcc, v11, v7, vcc
	global_load_ushort v6, v[6:7], off
	s_waitcnt vmcnt(1)
	v_add_f16_e32 v1, v13, v1
	s_waitcnt vmcnt(0)
	v_fma_f16 v12, -v13, v6, v12
	ds_write_b16 v9, v12
	ds_write_b16 v8, v1
.LBB8_4:                                ;   in Loop: Header=BB8_5 Depth=1
	s_or_b64 exec, exec, s[0:1]
	v_add_co_u32_e32 v4, vcc, 0x200, v4
	v_addc_co_u32_e32 v5, vcc, 0, v5, vcc
	v_mov_b32_e32 v6, s15
	v_add_co_u32_e32 v10, vcc, s14, v10
	v_addc_co_u32_e32 v11, vcc, v11, v6, vcc
	v_cmp_le_i64_e64 s[0:1], s[12:13], v[4:5]
	v_add_co_u32_e32 v2, vcc, 0x800, v2
	s_or_b64 s[18:19], s[0:1], s[18:19]
	v_addc_co_u32_e32 v3, vcc, 0, v3, vcc
	s_andn2_b64 exec, exec, s[18:19]
	s_cbranch_execz .LBB8_8
.LBB8_5:                                ; =>This Inner Loop Header: Depth=1
	global_load_dword v6, v[2:3], off
	s_waitcnt vmcnt(0)
	v_ashrrev_i32_e32 v7, 31, v6
	v_cmp_ne_u64_e32 vcc, s[16:17], v[6:7]
	s_and_saveexec_b64 s[0:1], vcc
	s_cbranch_execz .LBB8_4
; %bb.6:                                ;   in Loop: Header=BB8_5 Depth=1
	v_lshlrev_b64 v[6:7], 1, v[6:7]
	s_andn2_b64 vcc, exec, s[20:21]
	s_cbranch_vccz .LBB8_2
; %bb.7:                                ;   in Loop: Header=BB8_5 Depth=1
	v_mov_b32_e32 v13, 0x3c00
	s_branch .LBB8_3
.LBB8_8:
	s_or_b64 exec, exec, s[2:3]
; %bb.9:
	s_mov_b32 s0, 0
	v_cmp_eq_u32_e32 vcc, 0, v0
	s_waitcnt lgkmcnt(0)
	s_barrier
	s_and_saveexec_b64 s[2:3], vcc
	s_cbranch_execz .LBB8_13
; %bb.10:
	v_mov_b32_e32 v1, 0
	v_mov_b32_e32 v0, 0
.LBB8_11:                               ; =>This Inner Loop Header: Depth=1
	v_mov_b32_e32 v14, s0
	ds_read_b128 v[2:5], v14 offset:1024
	ds_read_b128 v[6:9], v14
	ds_read_b128 v[10:13], v14 offset:16
	ds_read_b128 v[14:17], v14 offset:1040
	s_add_i32 s0, s0, 32
	s_waitcnt lgkmcnt(3)
	v_add_f16_e32 v0, v0, v2
	s_waitcnt lgkmcnt(2)
	v_add_f16_e32 v1, v1, v6
	v_add_f16_sdwa v0, v0, v2 dst_sel:DWORD dst_unused:UNUSED_PAD src0_sel:DWORD src1_sel:WORD_1
	v_add_f16_sdwa v1, v1, v6 dst_sel:DWORD dst_unused:UNUSED_PAD src0_sel:DWORD src1_sel:WORD_1
	v_add_f16_e32 v0, v0, v3
	v_add_f16_e32 v1, v1, v7
	v_add_f16_sdwa v0, v0, v3 dst_sel:DWORD dst_unused:UNUSED_PAD src0_sel:DWORD src1_sel:WORD_1
	v_add_f16_sdwa v1, v1, v7 dst_sel:DWORD dst_unused:UNUSED_PAD src0_sel:DWORD src1_sel:WORD_1
	v_add_f16_e32 v0, v0, v4
	;; [unrolled: 4-line block ×3, first 2 shown]
	v_add_f16_e32 v1, v1, v9
	v_add_f16_sdwa v0, v0, v5 dst_sel:DWORD dst_unused:UNUSED_PAD src0_sel:DWORD src1_sel:WORD_1
	v_add_f16_sdwa v1, v1, v9 dst_sel:DWORD dst_unused:UNUSED_PAD src0_sel:DWORD src1_sel:WORD_1
	s_waitcnt lgkmcnt(0)
	v_add_f16_e32 v0, v0, v14
	v_add_f16_e32 v1, v1, v10
	v_add_f16_sdwa v0, v0, v14 dst_sel:DWORD dst_unused:UNUSED_PAD src0_sel:DWORD src1_sel:WORD_1
	v_add_f16_sdwa v1, v1, v10 dst_sel:DWORD dst_unused:UNUSED_PAD src0_sel:DWORD src1_sel:WORD_1
	v_add_f16_e32 v0, v0, v15
	v_add_f16_e32 v1, v1, v11
	v_add_f16_sdwa v0, v0, v15 dst_sel:DWORD dst_unused:UNUSED_PAD src0_sel:DWORD src1_sel:WORD_1
	v_add_f16_sdwa v1, v1, v11 dst_sel:DWORD dst_unused:UNUSED_PAD src0_sel:DWORD src1_sel:WORD_1
	;; [unrolled: 4-line block ×3, first 2 shown]
	v_add_f16_e32 v0, v0, v17
	v_add_f16_e32 v1, v1, v13
	s_cmpk_eq_i32 s0, 0x400
	v_add_f16_sdwa v0, v0, v17 dst_sel:DWORD dst_unused:UNUSED_PAD src0_sel:DWORD src1_sel:WORD_1
	v_add_f16_sdwa v1, v1, v13 dst_sel:DWORD dst_unused:UNUSED_PAD src0_sel:DWORD src1_sel:WORD_1
	s_cbranch_scc0 .LBB8_11
; %bb.12:
	v_cvt_f32_f16_e32 v2, v1
	v_cvt_f32_f16_e32 v3, v0
	s_load_dword s0, s[4:5], 0x28
	v_rcp_f32_e32 v4, v2
	s_waitcnt lgkmcnt(0)
	s_bitcmp1_b32 s0, 0
	v_mul_f32_e32 v5, v3, v4
	v_mad_f32 v6, -v2, v5, v3
	v_mac_f32_e32 v5, v6, v4
	v_mad_f32 v2, -v2, v5, v3
	v_mul_f32_e32 v2, v2, v4
	v_and_b32_e32 v2, 0xff800000, v2
	v_add_f32_e32 v2, v2, v5
	v_cvt_f16_f32_e32 v2, v2
	v_mov_b32_e32 v3, 0
	global_store_short v3, v1, s[10:11]
	s_cselect_b64 vcc, -1, 0
	v_div_fixup_f16 v1, v2, v1, v0
	v_cndmask_b32_e32 v0, v0, v1, vcc
	global_store_short v3, v0, s[8:9]
.LBB8_13:
	s_endpgm
	.section	.rodata,"a",@progbits
	.p2align	6, 0x0
	.amdhsa_kernel _Z32nll_loss_forward_reduce2d_kernelI6__halfS0_iLi512EEvPT_S2_PKS1_PKT1_S4_blll
		.amdhsa_group_segment_fixed_size 2048
		.amdhsa_private_segment_fixed_size 0
		.amdhsa_kernarg_size 72
		.amdhsa_user_sgpr_count 6
		.amdhsa_user_sgpr_private_segment_buffer 1
		.amdhsa_user_sgpr_dispatch_ptr 0
		.amdhsa_user_sgpr_queue_ptr 0
		.amdhsa_user_sgpr_kernarg_segment_ptr 1
		.amdhsa_user_sgpr_dispatch_id 0
		.amdhsa_user_sgpr_flat_scratch_init 0
		.amdhsa_user_sgpr_private_segment_size 0
		.amdhsa_uses_dynamic_stack 0
		.amdhsa_system_sgpr_private_segment_wavefront_offset 0
		.amdhsa_system_sgpr_workgroup_id_x 1
		.amdhsa_system_sgpr_workgroup_id_y 0
		.amdhsa_system_sgpr_workgroup_id_z 0
		.amdhsa_system_sgpr_workgroup_info 0
		.amdhsa_system_vgpr_workitem_id 0
		.amdhsa_next_free_vgpr 29
		.amdhsa_next_free_sgpr 61
		.amdhsa_reserve_vcc 1
		.amdhsa_reserve_flat_scratch 0
		.amdhsa_float_round_mode_32 0
		.amdhsa_float_round_mode_16_64 0
		.amdhsa_float_denorm_mode_32 3
		.amdhsa_float_denorm_mode_16_64 3
		.amdhsa_dx10_clamp 1
		.amdhsa_ieee_mode 1
		.amdhsa_fp16_overflow 0
		.amdhsa_exception_fp_ieee_invalid_op 0
		.amdhsa_exception_fp_denorm_src 0
		.amdhsa_exception_fp_ieee_div_zero 0
		.amdhsa_exception_fp_ieee_overflow 0
		.amdhsa_exception_fp_ieee_underflow 0
		.amdhsa_exception_fp_ieee_inexact 0
		.amdhsa_exception_int_div_zero 0
	.end_amdhsa_kernel
	.section	.text._Z32nll_loss_forward_reduce2d_kernelI6__halfS0_iLi512EEvPT_S2_PKS1_PKT1_S4_blll,"axG",@progbits,_Z32nll_loss_forward_reduce2d_kernelI6__halfS0_iLi512EEvPT_S2_PKS1_PKT1_S4_blll,comdat
.Lfunc_end8:
	.size	_Z32nll_loss_forward_reduce2d_kernelI6__halfS0_iLi512EEvPT_S2_PKS1_PKT1_S4_blll, .Lfunc_end8-_Z32nll_loss_forward_reduce2d_kernelI6__halfS0_iLi512EEvPT_S2_PKS1_PKT1_S4_blll
                                        ; -- End function
	.set _Z32nll_loss_forward_reduce2d_kernelI6__halfS0_iLi512EEvPT_S2_PKS1_PKT1_S4_blll.num_vgpr, 18
	.set _Z32nll_loss_forward_reduce2d_kernelI6__halfS0_iLi512EEvPT_S2_PKS1_PKT1_S4_blll.num_agpr, 0
	.set _Z32nll_loss_forward_reduce2d_kernelI6__halfS0_iLi512EEvPT_S2_PKS1_PKT1_S4_blll.numbered_sgpr, 28
	.set _Z32nll_loss_forward_reduce2d_kernelI6__halfS0_iLi512EEvPT_S2_PKS1_PKT1_S4_blll.num_named_barrier, 0
	.set _Z32nll_loss_forward_reduce2d_kernelI6__halfS0_iLi512EEvPT_S2_PKS1_PKT1_S4_blll.private_seg_size, 0
	.set _Z32nll_loss_forward_reduce2d_kernelI6__halfS0_iLi512EEvPT_S2_PKS1_PKT1_S4_blll.uses_vcc, 1
	.set _Z32nll_loss_forward_reduce2d_kernelI6__halfS0_iLi512EEvPT_S2_PKS1_PKT1_S4_blll.uses_flat_scratch, 0
	.set _Z32nll_loss_forward_reduce2d_kernelI6__halfS0_iLi512EEvPT_S2_PKS1_PKT1_S4_blll.has_dyn_sized_stack, 0
	.set _Z32nll_loss_forward_reduce2d_kernelI6__halfS0_iLi512EEvPT_S2_PKS1_PKT1_S4_blll.has_recursion, 0
	.set _Z32nll_loss_forward_reduce2d_kernelI6__halfS0_iLi512EEvPT_S2_PKS1_PKT1_S4_blll.has_indirect_call, 0
	.section	.AMDGPU.csdata,"",@progbits
; Kernel info:
; codeLenInByte = 764
; TotalNumSgprs: 32
; NumVgprs: 18
; ScratchSize: 0
; MemoryBound: 0
; FloatMode: 240
; IeeeMode: 1
; LDSByteSize: 2048 bytes/workgroup (compile time only)
; SGPRBlocks: 8
; VGPRBlocks: 7
; NumSGPRsForWavesPerEU: 65
; NumVGPRsForWavesPerEU: 29
; Occupancy: 8
; WaveLimiterHint : 1
; COMPUTE_PGM_RSRC2:SCRATCH_EN: 0
; COMPUTE_PGM_RSRC2:USER_SGPR: 6
; COMPUTE_PGM_RSRC2:TRAP_HANDLER: 0
; COMPUTE_PGM_RSRC2:TGID_X_EN: 1
; COMPUTE_PGM_RSRC2:TGID_Y_EN: 0
; COMPUTE_PGM_RSRC2:TGID_Z_EN: 0
; COMPUTE_PGM_RSRC2:TIDIG_COMP_CNT: 0
	.section	.text._Z32nll_loss_forward_reduce2d_kernelI6__halfS0_iLi1024EEvPT_S2_PKS1_PKT1_S4_blll,"axG",@progbits,_Z32nll_loss_forward_reduce2d_kernelI6__halfS0_iLi1024EEvPT_S2_PKS1_PKT1_S4_blll,comdat
	.protected	_Z32nll_loss_forward_reduce2d_kernelI6__halfS0_iLi1024EEvPT_S2_PKS1_PKT1_S4_blll ; -- Begin function _Z32nll_loss_forward_reduce2d_kernelI6__halfS0_iLi1024EEvPT_S2_PKS1_PKT1_S4_blll
	.globl	_Z32nll_loss_forward_reduce2d_kernelI6__halfS0_iLi1024EEvPT_S2_PKS1_PKT1_S4_blll
	.p2align	8
	.type	_Z32nll_loss_forward_reduce2d_kernelI6__halfS0_iLi1024EEvPT_S2_PKS1_PKT1_S4_blll,@function
_Z32nll_loss_forward_reduce2d_kernelI6__halfS0_iLi1024EEvPT_S2_PKS1_PKT1_S4_blll: ; @_Z32nll_loss_forward_reduce2d_kernelI6__halfS0_iLi1024EEvPT_S2_PKS1_PKT1_S4_blll
; %bb.0:
	s_load_dwordx4 s[12:15], s[4:5], 0x30
	s_load_dwordx4 s[8:11], s[4:5], 0x0
	v_mov_b32_e32 v1, 0
	v_lshlrev_b32_e32 v8, 1, v0
	ds_write_b16 v8, v1 offset:2048
	s_waitcnt lgkmcnt(0)
	v_cmp_gt_i64_e32 vcc, s[12:13], v[0:1]
	ds_write_b16 v8, v1
	s_and_saveexec_b64 s[6:7], vcc
	s_cbranch_execz .LBB9_8
; %bb.1:
	v_mad_u64_u32 v[2:3], s[0:1], s14, v0, 0
	s_load_dwordx4 s[0:3], s[4:5], 0x10
	s_load_dwordx2 s[16:17], s[4:5], 0x20
	s_load_dwordx2 s[18:19], s[4:5], 0x40
	v_or_b32_e32 v9, 0x800, v8
	v_mad_u64_u32 v[3:4], s[20:21], s15, v0, v[3:4]
	s_waitcnt lgkmcnt(0)
	s_cmp_lg_u64 s[16:17], 0
	s_cselect_b64 s[22:23], -1, 0
	v_lshlrev_b64 v[2:3], 1, v[2:3]
	v_mov_b32_e32 v4, s1
	v_add_co_u32_e32 v10, vcc, s0, v2
	v_addc_co_u32_e32 v11, vcc, v4, v3, vcc
	v_lshlrev_b32_e32 v2, 2, v0
	v_cndmask_b32_e64 v4, 0, 1, s[22:23]
	s_lshl_b64 s[14:15], s[14:15], 11
	v_mov_b32_e32 v3, s3
	v_add_co_u32_e32 v2, vcc, s2, v2
	v_cmp_ne_u32_e64 s[0:1], 1, v4
	v_mov_b32_e32 v5, v1
	s_mov_b64 s[20:21], 0
	v_addc_co_u32_e32 v3, vcc, 0, v3, vcc
	v_mov_b32_e32 v12, s15
	v_mov_b32_e32 v13, v1
	;; [unrolled: 1-line block ×3, first 2 shown]
	s_branch .LBB9_5
.LBB9_2:                                ;   in Loop: Header=BB9_5 Depth=1
	v_mov_b32_e32 v15, s17
	v_add_co_u32_e32 v14, vcc, s16, v6
	v_addc_co_u32_e32 v15, vcc, v15, v7, vcc
	global_load_ushort v14, v[14:15], off
.LBB9_3:                                ;   in Loop: Header=BB9_5 Depth=1
	v_add_co_u32_e32 v6, vcc, v10, v6
	v_addc_co_u32_e32 v7, vcc, v11, v7, vcc
	global_load_ushort v6, v[6:7], off
	s_waitcnt vmcnt(1)
	v_add_f16_e32 v1, v14, v1
	s_waitcnt vmcnt(0)
	v_fma_f16 v13, -v14, v6, v13
	ds_write_b16 v9, v13
	ds_write_b16 v8, v1
.LBB9_4:                                ;   in Loop: Header=BB9_5 Depth=1
	s_or_b64 exec, exec, s[2:3]
	v_add_co_u32_e32 v4, vcc, 0x400, v4
	v_addc_co_u32_e32 v5, vcc, 0, v5, vcc
	v_add_co_u32_e32 v10, vcc, s14, v10
	v_addc_co_u32_e32 v11, vcc, v11, v12, vcc
	v_cmp_le_i64_e64 s[2:3], s[12:13], v[4:5]
	v_add_co_u32_e32 v2, vcc, 0x1000, v2
	s_or_b64 s[20:21], s[2:3], s[20:21]
	v_addc_co_u32_e32 v3, vcc, 0, v3, vcc
	s_andn2_b64 exec, exec, s[20:21]
	s_cbranch_execz .LBB9_8
.LBB9_5:                                ; =>This Inner Loop Header: Depth=1
	global_load_dword v6, v[2:3], off
	s_waitcnt vmcnt(0)
	v_ashrrev_i32_e32 v7, 31, v6
	v_cmp_ne_u64_e32 vcc, s[18:19], v[6:7]
	s_and_saveexec_b64 s[2:3], vcc
	s_cbranch_execz .LBB9_4
; %bb.6:                                ;   in Loop: Header=BB9_5 Depth=1
	v_lshlrev_b64 v[6:7], 1, v[6:7]
	s_and_b64 vcc, exec, s[0:1]
	s_cbranch_vccz .LBB9_2
; %bb.7:                                ;   in Loop: Header=BB9_5 Depth=1
	v_mov_b32_e32 v14, 0x3c00
	s_branch .LBB9_3
.LBB9_8:
	s_or_b64 exec, exec, s[6:7]
; %bb.9:
	s_mov_b32 s0, 0
	v_cmp_eq_u32_e32 vcc, 0, v0
	s_waitcnt lgkmcnt(0)
	s_barrier
	s_and_saveexec_b64 s[2:3], vcc
	s_cbranch_execz .LBB9_13
; %bb.10:
	v_mov_b32_e32 v1, 0
	v_mov_b32_e32 v0, 0
.LBB9_11:                               ; =>This Inner Loop Header: Depth=1
	v_mov_b32_e32 v14, s0
	ds_read_b128 v[2:5], v14 offset:2048
	ds_read_b128 v[6:9], v14
	ds_read_b128 v[10:13], v14 offset:16
	ds_read_b128 v[14:17], v14 offset:2064
	s_add_i32 s0, s0, 32
	s_waitcnt lgkmcnt(3)
	v_add_f16_e32 v0, v0, v2
	s_waitcnt lgkmcnt(2)
	v_add_f16_e32 v1, v1, v6
	v_add_f16_sdwa v0, v0, v2 dst_sel:DWORD dst_unused:UNUSED_PAD src0_sel:DWORD src1_sel:WORD_1
	v_add_f16_sdwa v1, v1, v6 dst_sel:DWORD dst_unused:UNUSED_PAD src0_sel:DWORD src1_sel:WORD_1
	v_add_f16_e32 v0, v0, v3
	v_add_f16_e32 v1, v1, v7
	v_add_f16_sdwa v0, v0, v3 dst_sel:DWORD dst_unused:UNUSED_PAD src0_sel:DWORD src1_sel:WORD_1
	v_add_f16_sdwa v1, v1, v7 dst_sel:DWORD dst_unused:UNUSED_PAD src0_sel:DWORD src1_sel:WORD_1
	v_add_f16_e32 v0, v0, v4
	;; [unrolled: 4-line block ×3, first 2 shown]
	v_add_f16_e32 v1, v1, v9
	v_add_f16_sdwa v0, v0, v5 dst_sel:DWORD dst_unused:UNUSED_PAD src0_sel:DWORD src1_sel:WORD_1
	v_add_f16_sdwa v1, v1, v9 dst_sel:DWORD dst_unused:UNUSED_PAD src0_sel:DWORD src1_sel:WORD_1
	s_waitcnt lgkmcnt(0)
	v_add_f16_e32 v0, v0, v14
	v_add_f16_e32 v1, v1, v10
	v_add_f16_sdwa v0, v0, v14 dst_sel:DWORD dst_unused:UNUSED_PAD src0_sel:DWORD src1_sel:WORD_1
	v_add_f16_sdwa v1, v1, v10 dst_sel:DWORD dst_unused:UNUSED_PAD src0_sel:DWORD src1_sel:WORD_1
	v_add_f16_e32 v0, v0, v15
	v_add_f16_e32 v1, v1, v11
	v_add_f16_sdwa v0, v0, v15 dst_sel:DWORD dst_unused:UNUSED_PAD src0_sel:DWORD src1_sel:WORD_1
	v_add_f16_sdwa v1, v1, v11 dst_sel:DWORD dst_unused:UNUSED_PAD src0_sel:DWORD src1_sel:WORD_1
	;; [unrolled: 4-line block ×3, first 2 shown]
	v_add_f16_e32 v0, v0, v17
	v_add_f16_e32 v1, v1, v13
	s_cmpk_eq_i32 s0, 0x800
	v_add_f16_sdwa v0, v0, v17 dst_sel:DWORD dst_unused:UNUSED_PAD src0_sel:DWORD src1_sel:WORD_1
	v_add_f16_sdwa v1, v1, v13 dst_sel:DWORD dst_unused:UNUSED_PAD src0_sel:DWORD src1_sel:WORD_1
	s_cbranch_scc0 .LBB9_11
; %bb.12:
	v_cvt_f32_f16_e32 v2, v1
	v_cvt_f32_f16_e32 v3, v0
	s_load_dword s0, s[4:5], 0x28
	v_rcp_f32_e32 v4, v2
	s_waitcnt lgkmcnt(0)
	s_bitcmp1_b32 s0, 0
	v_mul_f32_e32 v5, v3, v4
	v_mad_f32 v6, -v2, v5, v3
	v_mac_f32_e32 v5, v6, v4
	v_mad_f32 v2, -v2, v5, v3
	v_mul_f32_e32 v2, v2, v4
	v_and_b32_e32 v2, 0xff800000, v2
	v_add_f32_e32 v2, v2, v5
	v_cvt_f16_f32_e32 v2, v2
	v_mov_b32_e32 v3, 0
	global_store_short v3, v1, s[10:11]
	s_cselect_b64 vcc, -1, 0
	v_div_fixup_f16 v1, v2, v1, v0
	v_cndmask_b32_e32 v0, v0, v1, vcc
	global_store_short v3, v0, s[8:9]
.LBB9_13:
	s_endpgm
	.section	.rodata,"a",@progbits
	.p2align	6, 0x0
	.amdhsa_kernel _Z32nll_loss_forward_reduce2d_kernelI6__halfS0_iLi1024EEvPT_S2_PKS1_PKT1_S4_blll
		.amdhsa_group_segment_fixed_size 4096
		.amdhsa_private_segment_fixed_size 0
		.amdhsa_kernarg_size 72
		.amdhsa_user_sgpr_count 6
		.amdhsa_user_sgpr_private_segment_buffer 1
		.amdhsa_user_sgpr_dispatch_ptr 0
		.amdhsa_user_sgpr_queue_ptr 0
		.amdhsa_user_sgpr_kernarg_segment_ptr 1
		.amdhsa_user_sgpr_dispatch_id 0
		.amdhsa_user_sgpr_flat_scratch_init 0
		.amdhsa_user_sgpr_private_segment_size 0
		.amdhsa_uses_dynamic_stack 0
		.amdhsa_system_sgpr_private_segment_wavefront_offset 0
		.amdhsa_system_sgpr_workgroup_id_x 1
		.amdhsa_system_sgpr_workgroup_id_y 0
		.amdhsa_system_sgpr_workgroup_id_z 0
		.amdhsa_system_sgpr_workgroup_info 0
		.amdhsa_system_vgpr_workitem_id 0
		.amdhsa_next_free_vgpr 29
		.amdhsa_next_free_sgpr 61
		.amdhsa_reserve_vcc 1
		.amdhsa_reserve_flat_scratch 0
		.amdhsa_float_round_mode_32 0
		.amdhsa_float_round_mode_16_64 0
		.amdhsa_float_denorm_mode_32 3
		.amdhsa_float_denorm_mode_16_64 3
		.amdhsa_dx10_clamp 1
		.amdhsa_ieee_mode 1
		.amdhsa_fp16_overflow 0
		.amdhsa_exception_fp_ieee_invalid_op 0
		.amdhsa_exception_fp_denorm_src 0
		.amdhsa_exception_fp_ieee_div_zero 0
		.amdhsa_exception_fp_ieee_overflow 0
		.amdhsa_exception_fp_ieee_underflow 0
		.amdhsa_exception_fp_ieee_inexact 0
		.amdhsa_exception_int_div_zero 0
	.end_amdhsa_kernel
	.section	.text._Z32nll_loss_forward_reduce2d_kernelI6__halfS0_iLi1024EEvPT_S2_PKS1_PKT1_S4_blll,"axG",@progbits,_Z32nll_loss_forward_reduce2d_kernelI6__halfS0_iLi1024EEvPT_S2_PKS1_PKT1_S4_blll,comdat
.Lfunc_end9:
	.size	_Z32nll_loss_forward_reduce2d_kernelI6__halfS0_iLi1024EEvPT_S2_PKS1_PKT1_S4_blll, .Lfunc_end9-_Z32nll_loss_forward_reduce2d_kernelI6__halfS0_iLi1024EEvPT_S2_PKS1_PKT1_S4_blll
                                        ; -- End function
	.set _Z32nll_loss_forward_reduce2d_kernelI6__halfS0_iLi1024EEvPT_S2_PKS1_PKT1_S4_blll.num_vgpr, 18
	.set _Z32nll_loss_forward_reduce2d_kernelI6__halfS0_iLi1024EEvPT_S2_PKS1_PKT1_S4_blll.num_agpr, 0
	.set _Z32nll_loss_forward_reduce2d_kernelI6__halfS0_iLi1024EEvPT_S2_PKS1_PKT1_S4_blll.numbered_sgpr, 24
	.set _Z32nll_loss_forward_reduce2d_kernelI6__halfS0_iLi1024EEvPT_S2_PKS1_PKT1_S4_blll.num_named_barrier, 0
	.set _Z32nll_loss_forward_reduce2d_kernelI6__halfS0_iLi1024EEvPT_S2_PKS1_PKT1_S4_blll.private_seg_size, 0
	.set _Z32nll_loss_forward_reduce2d_kernelI6__halfS0_iLi1024EEvPT_S2_PKS1_PKT1_S4_blll.uses_vcc, 1
	.set _Z32nll_loss_forward_reduce2d_kernelI6__halfS0_iLi1024EEvPT_S2_PKS1_PKT1_S4_blll.uses_flat_scratch, 0
	.set _Z32nll_loss_forward_reduce2d_kernelI6__halfS0_iLi1024EEvPT_S2_PKS1_PKT1_S4_blll.has_dyn_sized_stack, 0
	.set _Z32nll_loss_forward_reduce2d_kernelI6__halfS0_iLi1024EEvPT_S2_PKS1_PKT1_S4_blll.has_recursion, 0
	.set _Z32nll_loss_forward_reduce2d_kernelI6__halfS0_iLi1024EEvPT_S2_PKS1_PKT1_S4_blll.has_indirect_call, 0
	.section	.AMDGPU.csdata,"",@progbits
; Kernel info:
; codeLenInByte = 780
; TotalNumSgprs: 28
; NumVgprs: 18
; ScratchSize: 0
; MemoryBound: 0
; FloatMode: 240
; IeeeMode: 1
; LDSByteSize: 4096 bytes/workgroup (compile time only)
; SGPRBlocks: 8
; VGPRBlocks: 7
; NumSGPRsForWavesPerEU: 65
; NumVGPRsForWavesPerEU: 29
; Occupancy: 8
; WaveLimiterHint : 1
; COMPUTE_PGM_RSRC2:SCRATCH_EN: 0
; COMPUTE_PGM_RSRC2:USER_SGPR: 6
; COMPUTE_PGM_RSRC2:TRAP_HANDLER: 0
; COMPUTE_PGM_RSRC2:TGID_X_EN: 1
; COMPUTE_PGM_RSRC2:TGID_Y_EN: 0
; COMPUTE_PGM_RSRC2:TGID_Z_EN: 0
; COMPUTE_PGM_RSRC2:TIDIG_COMP_CNT: 0
	.section	.AMDGPU.gpr_maximums,"",@progbits
	.set amdgpu.max_num_vgpr, 0
	.set amdgpu.max_num_agpr, 0
	.set amdgpu.max_num_sgpr, 0
	.section	.AMDGPU.csdata,"",@progbits
	.type	__hip_cuid_4e4adce4f422abe3,@object ; @__hip_cuid_4e4adce4f422abe3
	.section	.bss,"aw",@nobits
	.globl	__hip_cuid_4e4adce4f422abe3
__hip_cuid_4e4adce4f422abe3:
	.byte	0                               ; 0x0
	.size	__hip_cuid_4e4adce4f422abe3, 1

	.ident	"AMD clang version 22.0.0git (https://github.com/RadeonOpenCompute/llvm-project roc-7.2.4 26084 f58b06dce1f9c15707c5f808fd002e18c2accf7e)"
	.section	".note.GNU-stack","",@progbits
	.addrsig
	.addrsig_sym __hip_cuid_4e4adce4f422abe3
	.amdgpu_metadata
---
amdhsa.kernels:
  - .args:
      - .actual_access:  write_only
        .address_space:  global
        .offset:         0
        .size:           8
        .value_kind:     global_buffer
      - .actual_access:  write_only
        .address_space:  global
        .offset:         8
        .size:           8
        .value_kind:     global_buffer
      - .actual_access:  read_only
        .address_space:  global
        .offset:         16
        .size:           8
        .value_kind:     global_buffer
      - .actual_access:  read_only
        .address_space:  global
        .offset:         24
        .size:           8
        .value_kind:     global_buffer
      - .actual_access:  read_only
        .address_space:  global
        .offset:         32
        .size:           8
        .value_kind:     global_buffer
      - .offset:         40
        .size:           1
        .value_kind:     by_value
      - .offset:         48
        .size:           8
        .value_kind:     by_value
      - .offset:         56
        .size:           8
        .value_kind:     by_value
      - .offset:         64
        .size:           8
        .value_kind:     by_value
    .group_segment_fixed_size: 512
    .kernarg_segment_align: 8
    .kernarg_segment_size: 72
    .language:       OpenCL C
    .language_version:
      - 2
      - 0
    .max_flat_workgroup_size: 1024
    .name:           _Z32nll_loss_forward_reduce2d_kernelIffiLi64EEvPT_S1_PKS0_PKT1_S3_blll
    .private_segment_fixed_size: 0
    .sgpr_count:     28
    .sgpr_spill_count: 0
    .symbol:         _Z32nll_loss_forward_reduce2d_kernelIffiLi64EEvPT_S1_PKS0_PKT1_S3_blll.kd
    .uniform_work_group_size: 1
    .uses_dynamic_stack: false
    .vgpr_count:     19
    .vgpr_spill_count: 0
    .wavefront_size: 64
  - .args:
      - .actual_access:  write_only
        .address_space:  global
        .offset:         0
        .size:           8
        .value_kind:     global_buffer
      - .actual_access:  write_only
        .address_space:  global
        .offset:         8
        .size:           8
        .value_kind:     global_buffer
      - .actual_access:  read_only
        .address_space:  global
        .offset:         16
        .size:           8
        .value_kind:     global_buffer
      - .actual_access:  read_only
        .address_space:  global
        .offset:         24
        .size:           8
        .value_kind:     global_buffer
      - .actual_access:  read_only
        .address_space:  global
        .offset:         32
        .size:           8
        .value_kind:     global_buffer
      - .offset:         40
        .size:           1
        .value_kind:     by_value
      - .offset:         48
        .size:           8
        .value_kind:     by_value
      - .offset:         56
        .size:           8
        .value_kind:     by_value
      - .offset:         64
        .size:           8
        .value_kind:     by_value
    .group_segment_fixed_size: 1024
    .kernarg_segment_align: 8
    .kernarg_segment_size: 72
    .language:       OpenCL C
    .language_version:
      - 2
      - 0
    .max_flat_workgroup_size: 1024
    .name:           _Z32nll_loss_forward_reduce2d_kernelIffiLi128EEvPT_S1_PKS0_PKT1_S3_blll
    .private_segment_fixed_size: 0
    .sgpr_count:     28
    .sgpr_spill_count: 0
    .symbol:         _Z32nll_loss_forward_reduce2d_kernelIffiLi128EEvPT_S1_PKS0_PKT1_S3_blll.kd
    .uniform_work_group_size: 1
    .uses_dynamic_stack: false
    .vgpr_count:     20
    .vgpr_spill_count: 0
    .wavefront_size: 64
  - .args:
      - .actual_access:  write_only
        .address_space:  global
        .offset:         0
        .size:           8
        .value_kind:     global_buffer
      - .actual_access:  write_only
        .address_space:  global
        .offset:         8
        .size:           8
        .value_kind:     global_buffer
      - .actual_access:  read_only
        .address_space:  global
        .offset:         16
        .size:           8
        .value_kind:     global_buffer
      - .actual_access:  read_only
        .address_space:  global
        .offset:         24
        .size:           8
        .value_kind:     global_buffer
      - .actual_access:  read_only
        .address_space:  global
        .offset:         32
        .size:           8
        .value_kind:     global_buffer
      - .offset:         40
        .size:           1
        .value_kind:     by_value
      - .offset:         48
        .size:           8
        .value_kind:     by_value
      - .offset:         56
        .size:           8
        .value_kind:     by_value
      - .offset:         64
        .size:           8
        .value_kind:     by_value
    .group_segment_fixed_size: 2048
    .kernarg_segment_align: 8
    .kernarg_segment_size: 72
    .language:       OpenCL C
    .language_version:
      - 2
      - 0
    .max_flat_workgroup_size: 1024
    .name:           _Z32nll_loss_forward_reduce2d_kernelIffiLi256EEvPT_S1_PKS0_PKT1_S3_blll
    .private_segment_fixed_size: 0
    .sgpr_count:     32
    .sgpr_spill_count: 0
    .symbol:         _Z32nll_loss_forward_reduce2d_kernelIffiLi256EEvPT_S1_PKS0_PKT1_S3_blll.kd
    .uniform_work_group_size: 1
    .uses_dynamic_stack: false
    .vgpr_count:     28
    .vgpr_spill_count: 0
    .wavefront_size: 64
  - .args:
      - .actual_access:  write_only
        .address_space:  global
        .offset:         0
        .size:           8
        .value_kind:     global_buffer
      - .actual_access:  write_only
        .address_space:  global
        .offset:         8
        .size:           8
        .value_kind:     global_buffer
      - .actual_access:  read_only
        .address_space:  global
        .offset:         16
        .size:           8
        .value_kind:     global_buffer
      - .actual_access:  read_only
        .address_space:  global
        .offset:         24
        .size:           8
        .value_kind:     global_buffer
      - .actual_access:  read_only
        .address_space:  global
        .offset:         32
        .size:           8
        .value_kind:     global_buffer
      - .offset:         40
        .size:           1
        .value_kind:     by_value
      - .offset:         48
        .size:           8
        .value_kind:     by_value
      - .offset:         56
        .size:           8
        .value_kind:     by_value
      - .offset:         64
        .size:           8
        .value_kind:     by_value
    .group_segment_fixed_size: 4096
    .kernarg_segment_align: 8
    .kernarg_segment_size: 72
    .language:       OpenCL C
    .language_version:
      - 2
      - 0
    .max_flat_workgroup_size: 1024
    .name:           _Z32nll_loss_forward_reduce2d_kernelIffiLi512EEvPT_S1_PKS0_PKT1_S3_blll
    .private_segment_fixed_size: 0
    .sgpr_count:     28
    .sgpr_spill_count: 0
    .symbol:         _Z32nll_loss_forward_reduce2d_kernelIffiLi512EEvPT_S1_PKS0_PKT1_S3_blll.kd
    .uniform_work_group_size: 1
    .uses_dynamic_stack: false
    .vgpr_count:     28
    .vgpr_spill_count: 0
    .wavefront_size: 64
  - .args:
      - .actual_access:  write_only
        .address_space:  global
        .offset:         0
        .size:           8
        .value_kind:     global_buffer
      - .actual_access:  write_only
        .address_space:  global
        .offset:         8
        .size:           8
        .value_kind:     global_buffer
      - .actual_access:  read_only
        .address_space:  global
        .offset:         16
        .size:           8
        .value_kind:     global_buffer
      - .actual_access:  read_only
        .address_space:  global
        .offset:         24
        .size:           8
        .value_kind:     global_buffer
      - .actual_access:  read_only
        .address_space:  global
        .offset:         32
        .size:           8
        .value_kind:     global_buffer
      - .offset:         40
        .size:           1
        .value_kind:     by_value
      - .offset:         48
        .size:           8
        .value_kind:     by_value
      - .offset:         56
        .size:           8
        .value_kind:     by_value
      - .offset:         64
        .size:           8
        .value_kind:     by_value
    .group_segment_fixed_size: 8192
    .kernarg_segment_align: 8
    .kernarg_segment_size: 72
    .language:       OpenCL C
    .language_version:
      - 2
      - 0
    .max_flat_workgroup_size: 1024
    .name:           _Z32nll_loss_forward_reduce2d_kernelIffiLi1024EEvPT_S1_PKS0_PKT1_S3_blll
    .private_segment_fixed_size: 0
    .sgpr_count:     28
    .sgpr_spill_count: 0
    .symbol:         _Z32nll_loss_forward_reduce2d_kernelIffiLi1024EEvPT_S1_PKS0_PKT1_S3_blll.kd
    .uniform_work_group_size: 1
    .uses_dynamic_stack: false
    .vgpr_count:     28
    .vgpr_spill_count: 0
    .wavefront_size: 64
  - .args:
      - .actual_access:  write_only
        .address_space:  global
        .offset:         0
        .size:           8
        .value_kind:     global_buffer
      - .actual_access:  write_only
        .address_space:  global
        .offset:         8
        .size:           8
        .value_kind:     global_buffer
      - .actual_access:  read_only
        .address_space:  global
        .offset:         16
        .size:           8
        .value_kind:     global_buffer
      - .actual_access:  read_only
        .address_space:  global
        .offset:         24
        .size:           8
        .value_kind:     global_buffer
      - .actual_access:  read_only
        .address_space:  global
        .offset:         32
        .size:           8
        .value_kind:     global_buffer
      - .offset:         40
        .size:           1
        .value_kind:     by_value
      - .offset:         48
        .size:           8
        .value_kind:     by_value
      - .offset:         56
        .size:           8
        .value_kind:     by_value
      - .offset:         64
        .size:           8
        .value_kind:     by_value
    .group_segment_fixed_size: 256
    .kernarg_segment_align: 8
    .kernarg_segment_size: 72
    .language:       OpenCL C
    .language_version:
      - 2
      - 0
    .max_flat_workgroup_size: 1024
    .name:           _Z32nll_loss_forward_reduce2d_kernelI6__halfS0_iLi64EEvPT_S2_PKS1_PKT1_S4_blll
    .private_segment_fixed_size: 0
    .sgpr_count:     28
    .sgpr_spill_count: 0
    .symbol:         _Z32nll_loss_forward_reduce2d_kernelI6__halfS0_iLi64EEvPT_S2_PKS1_PKT1_S4_blll.kd
    .uniform_work_group_size: 1
    .uses_dynamic_stack: false
    .vgpr_count:     21
    .vgpr_spill_count: 0
    .wavefront_size: 64
  - .args:
      - .actual_access:  write_only
        .address_space:  global
        .offset:         0
        .size:           8
        .value_kind:     global_buffer
      - .actual_access:  write_only
        .address_space:  global
        .offset:         8
        .size:           8
        .value_kind:     global_buffer
      - .actual_access:  read_only
        .address_space:  global
        .offset:         16
        .size:           8
        .value_kind:     global_buffer
      - .actual_access:  read_only
        .address_space:  global
        .offset:         24
        .size:           8
        .value_kind:     global_buffer
      - .actual_access:  read_only
        .address_space:  global
        .offset:         32
        .size:           8
        .value_kind:     global_buffer
      - .offset:         40
        .size:           1
        .value_kind:     by_value
      - .offset:         48
        .size:           8
        .value_kind:     by_value
      - .offset:         56
        .size:           8
        .value_kind:     by_value
      - .offset:         64
        .size:           8
        .value_kind:     by_value
    .group_segment_fixed_size: 512
    .kernarg_segment_align: 8
    .kernarg_segment_size: 72
    .language:       OpenCL C
    .language_version:
      - 2
      - 0
    .max_flat_workgroup_size: 1024
    .name:           _Z32nll_loss_forward_reduce2d_kernelI6__halfS0_iLi128EEvPT_S2_PKS1_PKT1_S4_blll
    .private_segment_fixed_size: 0
    .sgpr_count:     28
    .sgpr_spill_count: 0
    .symbol:         _Z32nll_loss_forward_reduce2d_kernelI6__halfS0_iLi128EEvPT_S2_PKS1_PKT1_S4_blll.kd
    .uniform_work_group_size: 1
    .uses_dynamic_stack: false
    .vgpr_count:     18
    .vgpr_spill_count: 0
    .wavefront_size: 64
  - .args:
      - .actual_access:  write_only
        .address_space:  global
        .offset:         0
        .size:           8
        .value_kind:     global_buffer
      - .actual_access:  write_only
        .address_space:  global
        .offset:         8
        .size:           8
        .value_kind:     global_buffer
      - .actual_access:  read_only
        .address_space:  global
        .offset:         16
        .size:           8
        .value_kind:     global_buffer
      - .actual_access:  read_only
        .address_space:  global
        .offset:         24
        .size:           8
        .value_kind:     global_buffer
      - .actual_access:  read_only
        .address_space:  global
        .offset:         32
        .size:           8
        .value_kind:     global_buffer
      - .offset:         40
        .size:           1
        .value_kind:     by_value
      - .offset:         48
        .size:           8
        .value_kind:     by_value
      - .offset:         56
        .size:           8
        .value_kind:     by_value
      - .offset:         64
        .size:           8
        .value_kind:     by_value
    .group_segment_fixed_size: 1024
    .kernarg_segment_align: 8
    .kernarg_segment_size: 72
    .language:       OpenCL C
    .language_version:
      - 2
      - 0
    .max_flat_workgroup_size: 1024
    .name:           _Z32nll_loss_forward_reduce2d_kernelI6__halfS0_iLi256EEvPT_S2_PKS1_PKT1_S4_blll
    .private_segment_fixed_size: 0
    .sgpr_count:     28
    .sgpr_spill_count: 0
    .symbol:         _Z32nll_loss_forward_reduce2d_kernelI6__halfS0_iLi256EEvPT_S2_PKS1_PKT1_S4_blll.kd
    .uniform_work_group_size: 1
    .uses_dynamic_stack: false
    .vgpr_count:     18
    .vgpr_spill_count: 0
    .wavefront_size: 64
  - .args:
      - .actual_access:  write_only
        .address_space:  global
        .offset:         0
        .size:           8
        .value_kind:     global_buffer
      - .actual_access:  write_only
        .address_space:  global
        .offset:         8
        .size:           8
        .value_kind:     global_buffer
      - .actual_access:  read_only
        .address_space:  global
        .offset:         16
        .size:           8
        .value_kind:     global_buffer
      - .actual_access:  read_only
        .address_space:  global
        .offset:         24
        .size:           8
        .value_kind:     global_buffer
      - .actual_access:  read_only
        .address_space:  global
        .offset:         32
        .size:           8
        .value_kind:     global_buffer
      - .offset:         40
        .size:           1
        .value_kind:     by_value
      - .offset:         48
        .size:           8
        .value_kind:     by_value
      - .offset:         56
        .size:           8
        .value_kind:     by_value
      - .offset:         64
        .size:           8
        .value_kind:     by_value
    .group_segment_fixed_size: 2048
    .kernarg_segment_align: 8
    .kernarg_segment_size: 72
    .language:       OpenCL C
    .language_version:
      - 2
      - 0
    .max_flat_workgroup_size: 1024
    .name:           _Z32nll_loss_forward_reduce2d_kernelI6__halfS0_iLi512EEvPT_S2_PKS1_PKT1_S4_blll
    .private_segment_fixed_size: 0
    .sgpr_count:     32
    .sgpr_spill_count: 0
    .symbol:         _Z32nll_loss_forward_reduce2d_kernelI6__halfS0_iLi512EEvPT_S2_PKS1_PKT1_S4_blll.kd
    .uniform_work_group_size: 1
    .uses_dynamic_stack: false
    .vgpr_count:     18
    .vgpr_spill_count: 0
    .wavefront_size: 64
  - .args:
      - .actual_access:  write_only
        .address_space:  global
        .offset:         0
        .size:           8
        .value_kind:     global_buffer
      - .actual_access:  write_only
        .address_space:  global
        .offset:         8
        .size:           8
        .value_kind:     global_buffer
      - .actual_access:  read_only
        .address_space:  global
        .offset:         16
        .size:           8
        .value_kind:     global_buffer
      - .actual_access:  read_only
        .address_space:  global
        .offset:         24
        .size:           8
        .value_kind:     global_buffer
      - .actual_access:  read_only
        .address_space:  global
        .offset:         32
        .size:           8
        .value_kind:     global_buffer
      - .offset:         40
        .size:           1
        .value_kind:     by_value
      - .offset:         48
        .size:           8
        .value_kind:     by_value
      - .offset:         56
        .size:           8
        .value_kind:     by_value
      - .offset:         64
        .size:           8
        .value_kind:     by_value
    .group_segment_fixed_size: 4096
    .kernarg_segment_align: 8
    .kernarg_segment_size: 72
    .language:       OpenCL C
    .language_version:
      - 2
      - 0
    .max_flat_workgroup_size: 1024
    .name:           _Z32nll_loss_forward_reduce2d_kernelI6__halfS0_iLi1024EEvPT_S2_PKS1_PKT1_S4_blll
    .private_segment_fixed_size: 0
    .sgpr_count:     28
    .sgpr_spill_count: 0
    .symbol:         _Z32nll_loss_forward_reduce2d_kernelI6__halfS0_iLi1024EEvPT_S2_PKS1_PKT1_S4_blll.kd
    .uniform_work_group_size: 1
    .uses_dynamic_stack: false
    .vgpr_count:     18
    .vgpr_spill_count: 0
    .wavefront_size: 64
amdhsa.target:   amdgcn-amd-amdhsa--gfx906
amdhsa.version:
  - 1
  - 2
...

	.end_amdgpu_metadata
